;; amdgpu-corpus repo=ROCm/rocFFT kind=compiled arch=gfx906 opt=O3
	.text
	.amdgcn_target "amdgcn-amd-amdhsa--gfx906"
	.amdhsa_code_object_version 6
	.protected	bluestein_single_fwd_len595_dim1_dp_op_CI_CI ; -- Begin function bluestein_single_fwd_len595_dim1_dp_op_CI_CI
	.globl	bluestein_single_fwd_len595_dim1_dp_op_CI_CI
	.p2align	8
	.type	bluestein_single_fwd_len595_dim1_dp_op_CI_CI,@function
bluestein_single_fwd_len595_dim1_dp_op_CI_CI: ; @bluestein_single_fwd_len595_dim1_dp_op_CI_CI
; %bb.0:
	v_mul_u32_u24_e32 v1, 0xf10, v0
	s_mov_b64 s[62:63], s[2:3]
	s_load_dwordx4 s[16:19], s[4:5], 0x28
	v_lshrrev_b32_e32 v1, 16, v1
	s_mov_b64 s[60:61], s[0:1]
	v_mad_u64_u32 v[15:16], s[0:1], s6, 3, v[1:2]
	v_mov_b32_e32 v16, 0
	s_add_u32 s60, s60, s7
	s_waitcnt lgkmcnt(0)
	v_cmp_gt_u64_e32 vcc, s[16:17], v[15:16]
	s_addc_u32 s61, s61, 0
	s_and_saveexec_b64 s[0:1], vcc
	s_cbranch_execz .LBB0_10
; %bb.1:
	s_load_dwordx4 s[8:11], s[4:5], 0x18
	v_mul_lo_u16_e32 v1, 17, v1
	v_sub_u16_e32 v168, v0, v1
	v_lshlrev_b32_e32 v10, 4, v168
	s_mov_b32 s24, 0xe976ee23
	s_waitcnt lgkmcnt(0)
	s_load_dwordx4 s[12:15], s[8:9], 0x0
	s_mov_b32 s8, 0xaaaaaaab
	s_mov_b32 s25, 0xbfe11646
	;; [unrolled: 1-line block ×4, first 2 shown]
	s_waitcnt lgkmcnt(0)
	v_mad_u64_u32 v[0:1], s[0:1], s14, v15, 0
	v_mad_u64_u32 v[2:3], s[0:1], s12, v168, 0
	s_mul_i32 s6, s13, 0x550
	s_mul_hi_u32 s7, s12, 0x550
	v_mad_u64_u32 v[4:5], s[0:1], s15, v15, v[1:2]
	s_add_i32 s6, s7, s6
	s_mul_i32 s7, s12, 0x550
	v_mad_u64_u32 v[5:6], s[0:1], s13, v168, v[3:4]
	v_mov_b32_e32 v1, v4
	v_lshlrev_b64 v[0:1], 4, v[0:1]
	v_mov_b32_e32 v6, s19
	v_mov_b32_e32 v3, v5
	v_add_co_u32_e32 v11, vcc, s18, v0
	s_load_dwordx4 s[0:3], s[4:5], 0x0
	v_addc_co_u32_e32 v12, vcc, v6, v1, vcc
	v_lshlrev_b64 v[0:1], 4, v[2:3]
	v_mov_b32_e32 v23, s6
	v_add_co_u32_e32 v13, vcc, v11, v0
	v_addc_co_u32_e32 v14, vcc, v12, v1, vcc
	v_mov_b32_e32 v0, s6
	v_add_co_u32_e32 v8, vcc, s7, v13
	s_waitcnt lgkmcnt(0)
	global_load_dwordx4 v[49:52], v10, s[0:1]
	v_addc_co_u32_e32 v9, vcc, v14, v0, vcc
	global_load_dwordx4 v[0:3], v[13:14], off
	global_load_dwordx4 v[45:48], v10, s[0:1] offset:1360
	global_load_dwordx4 v[4:7], v[8:9], off
	v_mul_hi_u32 v13, v15, s8
	v_add_co_u32_e32 v61, vcc, s0, v10
	global_load_dwordx4 v[103:106], v10, s[0:1] offset:2720
	global_load_dwordx4 v[89:92], v10, s[0:1] offset:4080
	;; [unrolled: 1-line block ×4, first 2 shown]
	v_lshrrev_b32_e32 v14, 1, v13
	v_mov_b32_e32 v13, s1
	v_lshl_add_u32 v14, v14, 1, v14
	v_addc_co_u32_e32 v62, vcc, 0, v13, vcc
	v_mov_b32_e32 v13, v15
	buffer_store_dword v13, off, s[60:63], 0 offset:372 ; 4-byte Folded Spill
	s_nop 0
	buffer_store_dword v14, off, s[60:63], 0 offset:376 ; 4-byte Folded Spill
	s_movk_i32 s8, 0x1000
	v_add_co_u32_e32 v97, vcc, s8, v61
	v_addc_co_u32_e32 v98, vcc, 0, v62, vcc
	v_add_co_u32_e32 v8, vcc, s7, v8
	global_load_dwordx4 v[169:172], v[97:98], off offset:1344
	global_load_dwordx4 v[123:126], v[97:98], off offset:2704
	;; [unrolled: 1-line block ×3, first 2 shown]
	v_mov_b32_e32 v25, s6
	s_mul_hi_u32 s14, s12, 0xffffe130
	s_mul_i32 s9, s13, 0xffffe130
	s_sub_i32 s14, s14, s12
	v_mov_b32_e32 v29, s6
	s_mul_i32 s8, s12, 0xffffe130
	s_add_i32 s9, s14, s9
	v_mov_b32_e32 v33, s9
	v_mov_b32_e32 v53, s6
	;; [unrolled: 1-line block ×3, first 2 shown]
	s_movk_i32 s14, 0x2000
	v_mov_b32_e32 v65, s6
	v_mov_b32_e32 v69, s6
	;; [unrolled: 1-line block ×3, first 2 shown]
	s_mov_b32 s18, 0x37e14327
	s_mov_b32 s19, 0x3fe948f6
	;; [unrolled: 1-line block ×10, first 2 shown]
	s_load_dwordx2 s[4:5], s[4:5], 0x38
	s_waitcnt vmcnt(11)
	v_mul_f64 v[37:38], v[2:3], v[51:52]
	v_mul_f64 v[39:40], v[0:1], v[51:52]
	s_waitcnt vmcnt(9)
	v_mul_f64 v[41:42], v[6:7], v[47:48]
	v_mul_f64 v[43:44], v[4:5], v[47:48]
	v_fma_f64 v[0:1], v[0:1], v[49:50], v[37:38]
	v_mov_b32_e32 v37, s6
	v_fma_f64 v[4:5], v[4:5], v[45:46], v[41:42]
	v_mov_b32_e32 v41, s6
	v_sub_u32_e32 v13, v15, v14
	v_mul_u32_u24_e32 v77, 0x253, v13
	v_mov_b32_e32 v13, s6
	v_addc_co_u32_e32 v9, vcc, v9, v13, vcc
	v_mov_b32_e32 v14, s6
	v_add_co_u32_e32 v21, vcc, s7, v8
	v_addc_co_u32_e32 v22, vcc, v9, v14, vcc
	global_load_dwordx4 v[13:16], v[8:9], off
	global_load_dwordx4 v[17:20], v[21:22], off
	v_add_co_u32_e32 v8, vcc, s7, v21
	v_addc_co_u32_e32 v9, vcc, v22, v23, vcc
	global_load_dwordx4 v[21:24], v[8:9], off
	v_add_co_u32_e32 v8, vcc, s7, v8
	v_addc_co_u32_e32 v9, vcc, v9, v25, vcc
	;; [unrolled: 3-line block ×4, first 2 shown]
	global_load_dwordx4 v[33:36], v[8:9], off
	s_nop 0
	buffer_store_dword v49, off, s[60:63], 0 offset:380 ; 4-byte Folded Spill
	s_nop 0
	buffer_store_dword v50, off, s[60:63], 0 offset:384 ; 4-byte Folded Spill
	buffer_store_dword v51, off, s[60:63], 0 offset:388 ; 4-byte Folded Spill
	;; [unrolled: 1-line block ×4, first 2 shown]
	s_nop 0
	buffer_store_dword v46, off, s[60:63], 0 offset:296 ; 4-byte Folded Spill
	buffer_store_dword v47, off, s[60:63], 0 offset:300 ; 4-byte Folded Spill
	;; [unrolled: 1-line block ×3, first 2 shown]
	v_add_co_u32_e32 v8, vcc, s7, v8
	v_addc_co_u32_e32 v9, vcc, v9, v37, vcc
	v_lshlrev_b32_e32 v213, 4, v77
	v_add_u32_e32 v212, v10, v213
	s_waitcnt vmcnt(12)
	v_mul_f64 v[77:78], v[19:20], v[91:92]
	v_mul_f64 v[79:80], v[17:18], v[91:92]
	s_waitcnt vmcnt(11)
	v_mul_f64 v[81:82], v[23:24], v[171:172]
	v_mul_f64 v[83:84], v[21:22], v[171:172]
	;; [unrolled: 3-line block ×3, first 2 shown]
	v_fma_f64 v[2:3], v[2:3], v[49:50], -v[39:40]
	global_load_dwordx4 v[37:40], v[8:9], off
	global_load_dwordx4 v[173:176], v10, s[0:1] offset:1632
	v_add_co_u32_e32 v8, vcc, s7, v8
	v_addc_co_u32_e32 v9, vcc, v9, v41, vcc
	v_fma_f64 v[6:7], v[6:7], v[45:46], -v[43:44]
	global_load_dwordx4 v[41:44], v[8:9], off
	global_load_dwordx4 v[163:166], v10, s[0:1] offset:2992
	v_mov_b32_e32 v45, s6
	v_add_co_u32_e32 v8, vcc, s7, v8
	v_addc_co_u32_e32 v9, vcc, v9, v45, vcc
	global_load_dwordx4 v[45:48], v[8:9], off
	global_load_dwordx4 v[159:162], v[97:98], off offset:256
	v_mov_b32_e32 v49, s6
	v_add_co_u32_e32 v8, vcc, s7, v8
	v_addc_co_u32_e32 v9, vcc, v9, v49, vcc
	global_load_dwordx4 v[49:52], v[8:9], off
	global_load_dwordx4 v[155:158], v[97:98], off offset:1616
	v_add_co_u32_e32 v8, vcc, s7, v8
	v_addc_co_u32_e32 v9, vcc, v9, v53, vcc
	global_load_dwordx4 v[53:56], v[8:9], off
	global_load_dwordx4 v[151:154], v[97:98], off offset:2976
	v_add_co_u32_e32 v8, vcc, s7, v8
	v_addc_co_u32_e32 v9, vcc, v9, v57, vcc
	v_add_co_u32_e32 v101, vcc, s14, v61
	v_addc_co_u32_e32 v102, vcc, 0, v62, vcc
	global_load_dwordx4 v[57:60], v[8:9], off
	v_mov_b32_e32 v61, s9
	v_add_co_u32_e32 v8, vcc, s8, v8
	v_addc_co_u32_e32 v9, vcc, v9, v61, vcc
	global_load_dwordx4 v[147:150], v[101:102], off offset:240
	global_load_dwordx4 v[61:64], v[8:9], off
	global_load_dwordx4 v[143:146], v10, s[0:1] offset:544
	v_add_co_u32_e32 v8, vcc, s7, v8
	v_addc_co_u32_e32 v9, vcc, v9, v65, vcc
	global_load_dwordx4 v[65:68], v[8:9], off
	global_load_dwordx4 v[139:142], v10, s[0:1] offset:1904
	v_add_co_u32_e32 v8, vcc, s7, v8
	v_addc_co_u32_e32 v9, vcc, v9, v69, vcc
	;; [unrolled: 4-line block ×3, first 2 shown]
	global_load_dwordx4 v[73:76], v[8:9], off
	global_load_dwordx4 v[127:130], v[97:98], off offset:528
	ds_write_b128 v212, v[0:3]
	ds_write_b128 v212, v[4:7] offset:1360
	v_mul_f64 v[4:5], v[15:16], v[105:106]
	v_mov_b32_e32 v0, s6
	v_add_co_u32_e32 v8, vcc, s7, v8
	v_addc_co_u32_e32 v9, vcc, v9, v0, vcc
	v_mul_f64 v[6:7], v[13:14], v[105:106]
	global_load_dwordx4 v[0:3], v[8:9], off
	global_load_dwordx4 v[131:134], v[97:98], off offset:1888
	global_load_dwordx4 v[111:114], v10, s[0:1] offset:3808
	global_load_dwordx4 v[115:118], v[97:98], off offset:2432
	v_fma_f64 v[4:5], v[13:14], v[103:104], v[4:5]
	buffer_store_dword v103, off, s[60:63], 0 offset:340 ; 4-byte Folded Spill
	s_nop 0
	buffer_store_dword v104, off, s[60:63], 0 offset:344 ; 4-byte Folded Spill
	buffer_store_dword v105, off, s[60:63], 0 offset:348 ; 4-byte Folded Spill
	buffer_store_dword v106, off, s[60:63], 0 offset:352 ; 4-byte Folded Spill
	v_fma_f64 v[13:14], v[17:18], v[89:90], v[77:78]
	buffer_store_dword v89, off, s[60:63], 0 offset:308 ; 4-byte Folded Spill
	s_nop 0
	buffer_store_dword v90, off, s[60:63], 0 offset:312 ; 4-byte Folded Spill
	buffer_store_dword v91, off, s[60:63], 0 offset:316 ; 4-byte Folded Spill
	buffer_store_dword v92, off, s[60:63], 0 offset:320 ; 4-byte Folded Spill
	;; [unrolled: 6-line block ×4, first 2 shown]
	s_waitcnt vmcnt(49)
	v_mul_f64 v[25:26], v[31:32], v[121:122]
	s_waitcnt vmcnt(48)
	v_mul_f64 v[77:78], v[35:36], v[95:96]
	v_add_co_u32_e32 v8, vcc, s7, v8
	s_waitcnt vmcnt(38)
	v_mul_f64 v[81:82], v[39:40], v[175:176]
	v_fma_f64 v[25:26], v[29:30], v[119:120], v[25:26]
	s_waitcnt vmcnt(36)
	v_mul_f64 v[85:86], v[43:44], v[165:166]
	v_fma_f64 v[6:7], v[15:16], v[103:104], -v[6:7]
	s_waitcnt vmcnt(18)
	v_mul_f64 v[103:104], v[2:3], v[133:134]
	v_fma_f64 v[15:16], v[19:20], v[89:90], -v[79:80]
	v_mul_f64 v[79:80], v[33:34], v[95:96]
	v_fma_f64 v[19:20], v[23:24], v[169:170], -v[83:84]
	;; [unrolled: 2-line block ×3, first 2 shown]
	v_mul_f64 v[27:28], v[29:30], v[121:122]
	buffer_store_dword v119, off, s[60:63], 0 offset:428 ; 4-byte Folded Spill
	s_nop 0
	buffer_store_dword v120, off, s[60:63], 0 offset:432 ; 4-byte Folded Spill
	buffer_store_dword v121, off, s[60:63], 0 offset:436 ; 4-byte Folded Spill
	;; [unrolled: 1-line block ×3, first 2 shown]
	v_fma_f64 v[29:30], v[33:34], v[93:94], v[77:78]
	buffer_store_dword v93, off, s[60:63], 0 offset:324 ; 4-byte Folded Spill
	s_nop 0
	buffer_store_dword v94, off, s[60:63], 0 offset:328 ; 4-byte Folded Spill
	buffer_store_dword v95, off, s[60:63], 0 offset:332 ; 4-byte Folded Spill
	;; [unrolled: 1-line block ×3, first 2 shown]
	v_fma_f64 v[33:34], v[37:38], v[173:174], v[81:82]
	buffer_store_dword v173, off, s[60:63], 0 offset:684 ; 4-byte Folded Spill
	s_nop 0
	buffer_store_dword v174, off, s[60:63], 0 offset:688 ; 4-byte Folded Spill
	buffer_store_dword v175, off, s[60:63], 0 offset:692 ; 4-byte Folded Spill
	;; [unrolled: 1-line block ×3, first 2 shown]
	v_mul_f64 v[87:88], v[41:42], v[165:166]
	v_fma_f64 v[37:38], v[41:42], v[163:164], v[85:86]
	buffer_store_dword v163, off, s[60:63], 0 offset:636 ; 4-byte Folded Spill
	s_nop 0
	buffer_store_dword v164, off, s[60:63], 0 offset:640 ; 4-byte Folded Spill
	buffer_store_dword v165, off, s[60:63], 0 offset:644 ; 4-byte Folded Spill
	;; [unrolled: 1-line block ×3, first 2 shown]
	v_mov_b32_e32 v42, s6
	v_addc_co_u32_e32 v9, vcc, v9, v42, vcc
	v_fma_f64 v[27:28], v[31:32], v[119:120], -v[27:28]
	v_fma_f64 v[31:32], v[35:36], v[93:94], -v[79:80]
	v_fma_f64 v[35:36], v[39:40], v[173:174], -v[83:84]
	v_fma_f64 v[39:40], v[43:44], v[163:164], -v[87:88]
	ds_write_b128 v212, v[4:7] offset:2720
	ds_write_b128 v212, v[13:16] offset:4080
	;; [unrolled: 1-line block ×8, first 2 shown]
	v_mul_f64 v[4:5], v[47:48], v[161:162]
	v_mul_f64 v[13:14], v[51:52], v[157:158]
	;; [unrolled: 1-line block ×6, first 2 shown]
	global_load_dwordx4 v[163:166], v[97:98], off offset:3248
	global_load_dwordx4 v[119:122], v[101:102], off offset:784
	v_mul_f64 v[19:20], v[53:54], v[153:154]
	v_mul_f64 v[23:24], v[57:58], v[149:150]
	v_fma_f64 v[4:5], v[45:46], v[159:160], v[4:5]
	buffer_store_dword v159, off, s[60:63], 0 offset:604 ; 4-byte Folded Spill
	s_nop 0
	buffer_store_dword v160, off, s[60:63], 0 offset:608 ; 4-byte Folded Spill
	buffer_store_dword v161, off, s[60:63], 0 offset:612 ; 4-byte Folded Spill
	buffer_store_dword v162, off, s[60:63], 0 offset:616 ; 4-byte Folded Spill
	v_fma_f64 v[13:14], v[49:50], v[155:156], v[13:14]
	buffer_store_dword v155, off, s[60:63], 0 offset:588 ; 4-byte Folded Spill
	s_nop 0
	buffer_store_dword v156, off, s[60:63], 0 offset:592 ; 4-byte Folded Spill
	buffer_store_dword v157, off, s[60:63], 0 offset:596 ; 4-byte Folded Spill
	buffer_store_dword v158, off, s[60:63], 0 offset:600 ; 4-byte Folded Spill
	;; [unrolled: 6-line block ×4, first 2 shown]
	v_mul_f64 v[25:26], v[63:64], v[145:146]
	v_mul_f64 v[29:30], v[67:68], v[141:142]
	;; [unrolled: 1-line block ×8, first 2 shown]
	v_fma_f64 v[25:26], v[61:62], v[143:144], v[25:26]
	v_fma_f64 v[29:30], v[65:66], v[139:140], v[29:30]
	v_or_b32_e32 v49, 0x220, v168
	v_fma_f64 v[33:34], v[69:70], v[135:136], v[33:34]
	v_fma_f64 v[37:38], v[73:74], v[127:128], v[37:38]
	v_mad_u64_u32 v[45:46], s[14:15], s12, v49, 0
	v_mov_b32_e32 v41, v46
	v_fma_f64 v[6:7], v[47:48], v[159:160], -v[6:7]
	v_mad_u64_u32 v[46:47], s[14:15], s13, v49, v[41:42]
	v_fma_f64 v[15:16], v[51:52], v[155:156], -v[15:16]
	global_load_dwordx4 v[155:158], v10, s[0:1] offset:816
	v_lshlrev_b64 v[45:46], 4, v[45:46]
	v_fma_f64 v[23:24], v[59:60], v[147:148], -v[23:24]
	global_load_dwordx4 v[147:150], v10, s[0:1] offset:3536
	s_nop 0
	buffer_store_dword v143, off, s[60:63], 0 offset:524 ; 4-byte Folded Spill
	s_nop 0
	buffer_store_dword v144, off, s[60:63], 0 offset:528 ; 4-byte Folded Spill
	buffer_store_dword v145, off, s[60:63], 0 offset:532 ; 4-byte Folded Spill
	buffer_store_dword v146, off, s[60:63], 0 offset:536 ; 4-byte Folded Spill
	buffer_store_dword v139, off, s[60:63], 0 offset:508 ; 4-byte Folded Spill
	s_nop 0
	buffer_store_dword v140, off, s[60:63], 0 offset:512 ; 4-byte Folded Spill
	buffer_store_dword v141, off, s[60:63], 0 offset:516 ; 4-byte Folded Spill
	buffer_store_dword v142, off, s[60:63], 0 offset:520 ; 4-byte Folded Spill
	buffer_store_dword v135, off, s[60:63], 0 offset:492 ; 4-byte Folded Spill
	s_nop 0
	buffer_store_dword v136, off, s[60:63], 0 offset:496 ; 4-byte Folded Spill
	buffer_store_dword v137, off, s[60:63], 0 offset:500 ; 4-byte Folded Spill
	buffer_store_dword v138, off, s[60:63], 0 offset:504 ; 4-byte Folded Spill
	buffer_store_dword v127, off, s[60:63], 0 offset:460 ; 4-byte Folded Spill
	s_nop 0
	buffer_store_dword v128, off, s[60:63], 0 offset:464 ; 4-byte Folded Spill
	buffer_store_dword v129, off, s[60:63], 0 offset:468 ; 4-byte Folded Spill
	buffer_store_dword v130, off, s[60:63], 0 offset:472 ; 4-byte Folded Spill
	v_add_co_u32_e32 v11, vcc, v11, v45
	v_addc_co_u32_e32 v12, vcc, v12, v46, vcc
	global_load_dwordx4 v[45:48], v[11:12], off
	v_mov_b32_e32 v11, 0xffffe680
	global_load_dwordx4 v[41:44], v[8:9], off
	v_mad_u64_u32 v[8:9], s[14:15], s12, v11, v[8:9]
	s_mulk_i32 s13, 0xe680
	s_sub_i32 s12, s13, s12
	v_add_u32_e32 v9, s12, v9
	buffer_store_dword v49, off, s[60:63], 0 offset:828 ; 4-byte Folded Spill
	v_lshlrev_b32_e32 v12, 4, v49
	global_load_dwordx4 v[49:52], v[8:9], off
	v_mov_b32_e32 v11, s6
	v_add_co_u32_e32 v8, vcc, s7, v8
	buffer_store_dword v12, off, s[60:63], 0 offset:1412 ; 4-byte Folded Spill
	v_addc_co_u32_e32 v9, vcc, v9, v11, vcc
	v_fma_f64 v[19:20], v[55:56], v[151:152], -v[19:20]
	global_load_dwordx4 v[173:176], v12, s[0:1]
	v_mov_b32_e32 v12, s6
	s_mov_b32 s14, 0x429ad128
	s_mov_b32 s15, 0x3febfeb5
	;; [unrolled: 1-line block ×4, first 2 shown]
	v_fma_f64 v[27:28], v[63:64], v[143:144], -v[27:28]
	global_load_dwordx4 v[143:146], v[97:98], off offset:2160
	global_load_dwordx4 v[53:56], v[8:9], off
	global_load_dwordx4 v[169:172], v10, s[0:1] offset:2176
	v_add_co_u32_e32 v8, vcc, s7, v8
	v_addc_co_u32_e32 v9, vcc, v9, v11, vcc
	global_load_dwordx4 v[57:60], v[8:9], off
	v_add_co_u32_e32 v8, vcc, s7, v8
	v_addc_co_u32_e32 v9, vcc, v9, v11, vcc
	global_load_dwordx4 v[61:64], v[8:9], off
	global_load_dwordx4 v[159:162], v[97:98], off offset:800
	v_add_co_u32_e32 v8, vcc, s7, v8
	v_addc_co_u32_e32 v9, vcc, v9, v11, vcc
	v_fma_f64 v[31:32], v[67:68], v[139:140], -v[31:32]
	global_load_dwordx4 v[65:68], v[8:9], off
	v_add_co_u32_e32 v8, vcc, s7, v8
	v_addc_co_u32_e32 v9, vcc, v9, v11, vcc
	v_fma_f64 v[35:36], v[71:72], v[135:136], -v[35:36]
	global_load_dwordx4 v[69:72], v[8:9], off
	global_load_dwordx4 v[151:154], v[97:98], off offset:3520
	v_add_co_u32_e32 v8, vcc, s7, v8
	v_addc_co_u32_e32 v9, vcc, v9, v11, vcc
	v_fma_f64 v[39:40], v[75:76], v[127:128], -v[39:40]
	global_load_dwordx4 v[73:76], v[8:9], off
	v_mov_b32_e32 v11, s9
	v_add_co_u32_e32 v8, vcc, s8, v8
	v_addc_co_u32_e32 v9, vcc, v9, v11, vcc
	global_load_dwordx4 v[77:80], v[8:9], off
	v_mov_b32_e32 v11, s6
	v_add_co_u32_e32 v8, vcc, s7, v8
	v_addc_co_u32_e32 v9, vcc, v9, v11, vcc
	global_load_dwordx4 v[81:84], v[8:9], off
	global_load_dwordx4 v[139:142], v10, s[0:1] offset:2448
	v_mov_b32_e32 v10, s6
	v_add_co_u32_e32 v85, vcc, s7, v8
	v_addc_co_u32_e32 v86, vcc, v9, v10, vcc
	v_add_co_u32_e32 v89, vcc, s7, v85
	v_addc_co_u32_e32 v90, vcc, v86, v12, vcc
	v_add_co_u32_e32 v93, vcc, s7, v89
	v_addc_co_u32_e32 v94, vcc, v90, v12, vcc
	v_add_co_u32_e32 v99, vcc, s7, v93
	v_addc_co_u32_e32 v100, vcc, v94, v12, vcc
	global_load_dwordx4 v[8:11], v[85:86], off
	s_nop 0
	global_load_dwordx4 v[85:88], v[89:90], off
	global_load_dwordx4 v[135:138], v[97:98], off offset:1072
	s_nop 0
	global_load_dwordx4 v[89:92], v[93:94], off
	s_nop 0
	global_load_dwordx4 v[93:96], v[99:100], off
	global_load_dwordx4 v[123:126], v[97:98], off offset:3792
	v_add_co_u32_e32 v97, vcc, s7, v99
	v_addc_co_u32_e32 v98, vcc, v100, v12, vcc
	global_load_dwordx4 v[97:100], v[97:98], off
	s_nop 0
	global_load_dwordx4 v[127:130], v[101:102], off offset:1056
	v_mul_f64 v[101:102], v[0:1], v[133:134]
	s_load_dwordx4 s[8:11], s[10:11], 0x0
	ds_write_b128 v212, v[4:7] offset:4352
	v_fma_f64 v[0:1], v[0:1], v[131:132], v[103:104]
	buffer_store_dword v131, off, s[60:63], 0 offset:476 ; 4-byte Folded Spill
	s_nop 0
	buffer_store_dword v132, off, s[60:63], 0 offset:480 ; 4-byte Folded Spill
	buffer_store_dword v133, off, s[60:63], 0 offset:484 ; 4-byte Folded Spill
	;; [unrolled: 1-line block ×3, first 2 shown]
	s_waitcnt vmcnt(25)
	v_mul_f64 v[4:5], v[47:48], v[175:176]
	v_mul_f64 v[6:7], v[45:46], v[175:176]
	s_mov_b32 s6, 0x36b3c0b5
	s_mov_b32 s7, 0x3fac98ee
	v_add_co_u32_e32 v209, vcc, 17, v168
	v_fma_f64 v[4:5], v[45:46], v[173:174], v[4:5]
	v_fma_f64 v[2:3], v[2:3], v[131:132], -v[101:102]
	ds_write_b128 v212, v[13:16] offset:5712
	ds_write_b128 v212, v[17:20] offset:7072
	;; [unrolled: 1-line block ×8, first 2 shown]
	v_mul_f64 v[0:1], v[43:44], v[165:166]
	v_mul_f64 v[12:13], v[51:52], v[157:158]
	s_waitcnt vmcnt(22)
	v_mul_f64 v[16:17], v[55:56], v[171:172]
	s_waitcnt vmcnt(21)
	;; [unrolled: 2-line block ×5, first 2 shown]
	v_mul_f64 v[32:33], v[71:72], v[153:154]
	v_mul_f64 v[2:3], v[41:42], v[165:166]
	v_fma_f64 v[0:1], v[41:42], v[163:164], v[0:1]
	buffer_store_dword v163, off, s[60:63], 0 offset:796 ; 4-byte Folded Spill
	s_nop 0
	buffer_store_dword v164, off, s[60:63], 0 offset:800 ; 4-byte Folded Spill
	buffer_store_dword v165, off, s[60:63], 0 offset:804 ; 4-byte Folded Spill
	buffer_store_dword v166, off, s[60:63], 0 offset:808 ; 4-byte Folded Spill
	buffer_store_dword v173, off, s[60:63], 0 offset:848 ; 4-byte Folded Spill
	s_nop 0
	buffer_store_dword v174, off, s[60:63], 0 offset:852 ; 4-byte Folded Spill
	buffer_store_dword v175, off, s[60:63], 0 offset:856 ; 4-byte Folded Spill
	buffer_store_dword v176, off, s[60:63], 0 offset:860 ; 4-byte Folded Spill
	v_mul_f64 v[14:15], v[49:50], v[157:158]
	v_fma_f64 v[12:13], v[49:50], v[155:156], v[12:13]
	buffer_store_dword v155, off, s[60:63], 0 offset:780 ; 4-byte Folded Spill
	s_nop 0
	buffer_store_dword v156, off, s[60:63], 0 offset:784 ; 4-byte Folded Spill
	buffer_store_dword v157, off, s[60:63], 0 offset:788 ; 4-byte Folded Spill
	buffer_store_dword v158, off, s[60:63], 0 offset:792 ; 4-byte Folded Spill
	v_mul_f64 v[18:19], v[53:54], v[171:172]
	v_fma_f64 v[16:17], v[53:54], v[169:170], v[16:17]
	buffer_store_dword v169, off, s[60:63], 0 offset:832 ; 4-byte Folded Spill
	;; [unrolled: 7-line block ×6, first 2 shown]
	s_nop 0
	buffer_store_dword v152, off, s[60:63], 0 offset:768 ; 4-byte Folded Spill
	buffer_store_dword v153, off, s[60:63], 0 offset:772 ; 4-byte Folded Spill
	;; [unrolled: 1-line block ×3, first 2 shown]
	v_fma_f64 v[2:3], v[43:44], v[163:164], -v[2:3]
	v_fma_f64 v[6:7], v[47:48], v[173:174], -v[6:7]
	;; [unrolled: 1-line block ×8, first 2 shown]
	ds_write_b128 v212, v[0:3] offset:7344
	ds_write_b128 v212, v[4:7] offset:8704
	;; [unrolled: 1-line block ×8, first 2 shown]
	s_waitcnt vmcnt(47)
	v_mul_f64 v[0:1], v[75:76], v[121:122]
	s_waitcnt vmcnt(46)
	v_mul_f64 v[4:5], v[79:80], v[109:110]
	;; [unrolled: 2-line block ×4, first 2 shown]
	v_mul_f64 v[2:3], v[73:74], v[121:122]
	v_mul_f64 v[6:7], v[77:78], v[109:110]
	;; [unrolled: 1-line block ×4, first 2 shown]
	v_fma_f64 v[0:1], v[73:74], v[119:120], v[0:1]
	buffer_store_dword v119, off, s[60:63], 0 offset:572 ; 4-byte Folded Spill
	s_nop 0
	buffer_store_dword v120, off, s[60:63], 0 offset:576 ; 4-byte Folded Spill
	buffer_store_dword v121, off, s[60:63], 0 offset:580 ; 4-byte Folded Spill
	buffer_store_dword v122, off, s[60:63], 0 offset:584 ; 4-byte Folded Spill
	v_fma_f64 v[4:5], v[77:78], v[107:108], v[4:5]
	buffer_store_dword v107, off, s[60:63], 0 offset:356 ; 4-byte Folded Spill
	s_nop 0
	buffer_store_dword v108, off, s[60:63], 0 offset:360 ; 4-byte Folded Spill
	buffer_store_dword v109, off, s[60:63], 0 offset:364 ; 4-byte Folded Spill
	buffer_store_dword v110, off, s[60:63], 0 offset:368 ; 4-byte Folded Spill
	;; [unrolled: 6-line block ×4, first 2 shown]
	s_waitcnt vmcnt(57)
	v_mul_f64 v[16:17], v[87:88], v[137:138]
	s_waitcnt vmcnt(56)
	v_mul_f64 v[20:21], v[91:92], v[117:118]
	;; [unrolled: 2-line block ×4, first 2 shown]
	v_mul_f64 v[22:23], v[89:90], v[117:118]
	v_mul_f64 v[26:27], v[93:94], v[125:126]
	;; [unrolled: 1-line block ×3, first 2 shown]
	v_fma_f64 v[16:17], v[85:86], v[135:136], v[16:17]
	v_fma_f64 v[20:21], v[89:90], v[115:116], v[20:21]
	;; [unrolled: 1-line block ×4, first 2 shown]
	v_fma_f64 v[2:3], v[75:76], v[119:120], -v[2:3]
	v_fma_f64 v[6:7], v[79:80], v[107:108], -v[6:7]
	v_fma_f64 v[14:15], v[83:84], v[139:140], -v[14:15]
	v_fma_f64 v[10:11], v[10:11], v[111:112], -v[18:19]
	v_mul_f64 v[18:19], v[85:86], v[137:138]
	buffer_store_dword v135, off, s[60:63], 0 offset:700 ; 4-byte Folded Spill
	s_nop 0
	buffer_store_dword v136, off, s[60:63], 0 offset:704 ; 4-byte Folded Spill
	buffer_store_dword v137, off, s[60:63], 0 offset:708 ; 4-byte Folded Spill
	buffer_store_dword v138, off, s[60:63], 0 offset:712 ; 4-byte Folded Spill
	buffer_store_dword v115, off, s[60:63], 0 offset:412 ; 4-byte Folded Spill
	s_nop 0
	buffer_store_dword v116, off, s[60:63], 0 offset:416 ; 4-byte Folded Spill
	buffer_store_dword v117, off, s[60:63], 0 offset:420 ; 4-byte Folded Spill
	buffer_store_dword v118, off, s[60:63], 0 offset:424 ; 4-byte Folded Spill
	;; [unrolled: 5-line block ×4, first 2 shown]
	v_fma_f64 v[18:19], v[87:88], v[135:136], -v[18:19]
	v_fma_f64 v[22:23], v[91:92], v[115:116], -v[22:23]
	;; [unrolled: 1-line block ×4, first 2 shown]
	ds_write_b128 v212, v[0:3] offset:8976
	ds_write_b128 v212, v[4:7] offset:1088
	;; [unrolled: 1-line block ×8, first 2 shown]
	s_waitcnt lgkmcnt(0)
	; wave barrier
	s_waitcnt lgkmcnt(0)
	ds_read_b128 v[24:27], v212 offset:2720
	ds_read_b128 v[40:43], v212 offset:2992
	;; [unrolled: 1-line block ×24, first 2 shown]
	s_waitcnt lgkmcnt(5)
	v_add_f64 v[16:17], v[32:33], v[20:21]
	v_add_f64 v[18:19], v[34:35], v[22:23]
	v_add_f64 v[20:21], v[32:33], -v[20:21]
	v_add_f64 v[22:23], v[34:35], -v[22:23]
	s_waitcnt lgkmcnt(1)
	v_add_f64 v[38:39], v[24:25], v[100:101]
	v_add_f64 v[36:37], v[26:27], v[102:103]
	v_add_f64 v[34:35], v[24:25], -v[100:101]
	v_add_f64 v[32:33], v[26:27], -v[102:103]
	v_add_f64 v[100:101], v[40:41], v[68:69]
	v_add_f64 v[102:103], v[42:43], v[70:71]
	v_add_f64 v[68:69], v[40:41], -v[68:69]
	v_add_f64 v[70:71], v[42:43], -v[70:71]
	;; [unrolled: 4-line block ×3, first 2 shown]
	ds_read_b128 v[40:43], v212 offset:2176
	ds_read_b128 v[44:47], v212 offset:2448
	v_add_f64 v[24:25], v[96:97], v[28:29]
	v_add_f64 v[26:27], v[98:99], v[30:31]
	v_add_f64 v[28:29], v[28:29], -v[96:97]
	v_add_f64 v[30:31], v[30:31], -v[98:99]
	v_add_f64 v[96:97], v[52:53], v[48:49]
	v_add_f64 v[98:99], v[54:55], v[50:51]
	v_add_f64 v[52:53], v[52:53], -v[48:49]
	v_add_f64 v[54:55], v[54:55], -v[50:51]
	s_waitcnt lgkmcnt(1)
	v_add_f64 v[116:117], v[40:41], v[92:93]
	v_add_f64 v[118:119], v[42:43], v[94:95]
	v_add_f64 v[120:121], v[40:41], -v[92:93]
	v_add_f64 v[122:123], v[42:43], -v[94:95]
	ds_read_b128 v[40:43], v212 offset:7616
	ds_read_b128 v[48:51], v212 offset:7888
	v_add_f64 v[108:109], v[56:57], v[88:89]
	v_add_f64 v[88:89], v[56:57], -v[88:89]
	v_add_f64 v[56:57], v[32:33], -v[22:23]
	s_waitcnt lgkmcnt(1)
	v_add_f64 v[124:125], v[12:13], v[40:41]
	v_add_f64 v[126:127], v[14:15], v[42:43]
	v_add_f64 v[128:129], v[12:13], -v[40:41]
	v_add_f64 v[130:131], v[14:15], -v[42:43]
	ds_read_b128 v[12:15], v212 offset:4896
	ds_read_b128 v[40:43], v212 offset:5168
	s_waitcnt lgkmcnt(2)
	v_add_f64 v[148:149], v[4:5], v[48:49]
	v_add_f64 v[152:153], v[4:5], -v[48:49]
	v_add_f64 v[4:5], v[38:39], v[16:17]
	s_waitcnt lgkmcnt(1)
	v_add_f64 v[132:133], v[12:13], v[84:85]
	v_add_f64 v[134:135], v[14:15], v[86:87]
	v_add_f64 v[136:137], v[84:85], -v[12:13]
	v_add_f64 v[138:139], v[86:87], -v[14:15]
	ds_read_b128 v[12:15], v212 offset:9248
	v_add_f64 v[150:151], v[6:7], v[50:51]
	v_add_f64 v[154:155], v[6:7], -v[50:51]
	s_waitcnt lgkmcnt(1)
	v_add_f64 v[156:157], v[40:41], v[8:9]
	v_add_f64 v[158:159], v[42:43], v[10:11]
	s_waitcnt lgkmcnt(0)
	v_add_f64 v[140:141], v[44:45], v[12:13]
	v_add_f64 v[144:145], v[44:45], -v[12:13]
	v_add_f64 v[12:13], v[24:25], v[4:5]
	v_add_f64 v[4:5], v[36:37], v[18:19]
	v_add_f64 v[160:161], v[8:9], -v[40:41]
	v_add_f64 v[162:163], v[10:11], -v[42:43]
	;; [unrolled: 1-line block ×7, first 2 shown]
	v_add_f64 v[142:143], v[46:47], v[14:15]
	v_add_f64 v[146:147], v[46:47], -v[14:15]
	v_add_f64 v[14:15], v[26:27], v[4:5]
	ds_read_b128 v[4:7], v212
	ds_read_b128 v[8:11], v212 offset:272
	v_add_f64 v[38:39], v[24:25], -v[38:39]
	v_add_f64 v[36:37], v[26:27], -v[36:37]
	v_add_f64 v[44:45], v[28:29], v[34:35]
	s_waitcnt lgkmcnt(1)
	v_add_f64 v[4:5], v[4:5], v[12:13]
	v_add_f64 v[46:47], v[28:29], -v[34:35]
	v_add_f64 v[48:49], v[34:35], -v[20:21]
	v_add_f64 v[34:35], v[30:31], v[32:33]
	v_mul_f64 v[50:51], v[50:51], s[24:25]
	v_add_f64 v[24:25], v[20:21], -v[28:29]
	v_add_f64 v[26:27], v[22:23], -v[30:31]
	v_mul_f64 v[28:29], v[16:17], s[18:19]
	v_mul_f64 v[30:31], v[18:19], s[18:19]
	;; [unrolled: 1-line block ×3, first 2 shown]
	v_add_f64 v[110:111], v[58:59], v[90:91]
	v_add_f64 v[90:91], v[58:59], -v[90:91]
	v_add_f64 v[112:113], v[76:77], v[72:73]
	v_add_f64 v[72:73], v[76:77], -v[72:73]
	;; [unrolled: 2-line block ×3, first 2 shown]
	v_add_f64 v[6:7], v[6:7], v[14:15]
	v_add_f64 v[44:45], v[44:45], v[20:21]
	;; [unrolled: 1-line block ×3, first 2 shown]
	v_fma_f64 v[64:65], v[12:13], s[28:29], v[4:5]
	v_mul_f64 v[46:47], v[46:47], s[24:25]
	v_mul_f64 v[16:17], v[48:49], s[14:15]
	v_fma_f64 v[20:21], v[40:41], s[20:21], -v[28:29]
	v_fma_f64 v[18:19], v[26:27], s[22:23], -v[18:19]
	v_fma_f64 v[28:29], v[38:39], s[6:7], v[28:29]
	v_fma_f64 v[26:27], v[26:27], s[16:17], v[50:51]
	v_add_f64 v[114:115], v[78:79], v[74:75]
	v_add_f64 v[74:75], v[78:79], -v[74:75]
	v_add_f64 v[78:79], v[66:67], v[82:83]
	v_add_f64 v[82:83], v[82:83], -v[66:67]
	v_fma_f64 v[66:67], v[14:15], s[28:29], v[6:7]
	v_mul_f64 v[12:13], v[38:39], s[6:7]
	v_mul_f64 v[14:15], v[36:37], s[6:7]
	v_fma_f64 v[22:23], v[42:43], s[20:21], -v[30:31]
	v_fma_f64 v[16:17], v[24:25], s[22:23], -v[16:17]
	v_fma_f64 v[30:31], v[36:37], s[6:7], v[30:31]
	v_fma_f64 v[24:25], v[24:25], s[16:17], v[46:47]
	v_add_f64 v[28:29], v[28:29], v[64:65]
	v_fma_f64 v[36:37], v[58:59], s[12:13], v[26:27]
	v_fma_f64 v[12:13], v[40:41], s[26:27], -v[12:13]
	v_fma_f64 v[14:15], v[42:43], s[26:27], -v[14:15]
	v_add_f64 v[20:21], v[20:21], v[64:65]
	v_fma_f64 v[40:41], v[58:59], s[12:13], v[18:19]
	v_add_f64 v[30:31], v[30:31], v[66:67]
	v_fma_f64 v[38:39], v[44:45], s[12:13], v[24:25]
	v_add_f64 v[22:23], v[22:23], v[66:67]
	v_add_f64 v[24:25], v[28:29], v[36:37]
	v_add_f64 v[28:29], v[28:29], -v[36:37]
	v_add_f64 v[36:37], v[100:101], v[96:97]
	v_add_f64 v[32:33], v[12:13], v[64:65]
	v_fma_f64 v[12:13], v[56:57], s[14:15], -v[50:51]
	v_add_f64 v[56:57], v[104:105], -v[100:101]
	v_add_f64 v[34:35], v[14:15], v[66:67]
	v_fma_f64 v[42:43], v[44:45], s[12:13], v[16:17]
	v_add_f64 v[16:17], v[20:21], v[40:41]
	v_add_f64 v[20:21], v[20:21], -v[40:41]
	v_add_f64 v[36:37], v[104:105], v[36:37]
	v_add_f64 v[26:27], v[30:31], -v[38:39]
	v_fma_f64 v[84:85], v[58:59], s[12:13], v[12:13]
	v_fma_f64 v[12:13], v[48:49], s[14:15], -v[46:47]
	v_add_f64 v[30:31], v[38:39], v[30:31]
	v_add_f64 v[38:39], v[102:103], v[98:99]
	v_add_f64 v[40:41], v[62:63], -v[70:71]
	v_add_f64 v[18:19], v[22:23], -v[42:43]
	s_waitcnt lgkmcnt(0)
	v_add_f64 v[8:9], v[8:9], v[36:37]
	v_add_f64 v[22:23], v[42:43], v[22:23]
	;; [unrolled: 1-line block ×3, first 2 shown]
	v_fma_f64 v[86:87], v[44:45], s[12:13], v[12:13]
	v_add_f64 v[44:45], v[100:101], -v[96:97]
	v_add_f64 v[38:39], v[106:107], v[38:39]
	v_add_f64 v[48:49], v[70:71], -v[54:55]
	v_mul_f64 v[64:65], v[40:41], s[24:25]
	v_fma_f64 v[66:67], v[36:37], s[28:29], v[8:9]
	v_mul_f64 v[36:37], v[56:57], s[6:7]
	v_add_f64 v[40:41], v[60:61], v[68:69]
	v_add_f64 v[50:51], v[60:61], -v[68:69]
	v_add_f64 v[12:13], v[32:33], -v[84:85]
	v_add_f64 v[14:15], v[86:87], v[34:35]
	v_add_f64 v[32:33], v[32:33], v[84:85]
	v_add_f64 v[34:35], v[34:35], -v[86:87]
	v_add_f64 v[10:11], v[10:11], v[38:39]
	v_fma_f64 v[36:37], v[44:45], s[26:27], -v[36:37]
	v_add_f64 v[58:59], v[106:107], -v[102:103]
	v_add_f64 v[68:69], v[68:69], -v[52:53]
	v_add_f64 v[84:85], v[40:41], v[52:53]
	v_add_f64 v[86:87], v[42:43], v[54:55]
	v_mul_f64 v[92:93], v[50:51], s[24:25]
	v_add_f64 v[46:47], v[102:103], -v[98:99]
	v_fma_f64 v[70:71], v[38:39], s[28:29], v[10:11]
	v_add_f64 v[40:41], v[36:37], v[66:67]
	v_fma_f64 v[36:37], v[48:49], s[14:15], -v[64:65]
	v_mul_f64 v[38:39], v[58:59], s[6:7]
	v_add_f64 v[52:53], v[52:53], -v[60:61]
	v_add_f64 v[54:55], v[54:55], -v[62:63]
	v_mul_f64 v[48:49], v[48:49], s[14:15]
	v_add_f64 v[100:101], v[74:75], -v[90:91]
	v_fma_f64 v[50:51], v[86:87], s[12:13], v[36:37]
	v_fma_f64 v[36:37], v[68:69], s[14:15], -v[92:93]
	v_fma_f64 v[38:39], v[46:47], s[26:27], -v[38:39]
	;; [unrolled: 1-line block ×3, first 2 shown]
	v_fma_f64 v[54:55], v[54:55], s[16:17], v[64:65]
	v_fma_f64 v[94:95], v[84:85], s[12:13], v[36:37]
	v_add_f64 v[36:37], v[40:41], -v[50:51]
	v_add_f64 v[40:41], v[40:41], v[50:51]
	v_add_f64 v[50:51], v[96:97], -v[104:105]
	v_add_f64 v[42:43], v[38:39], v[70:71]
	v_fma_f64 v[48:49], v[86:87], s[12:13], v[48:49]
	v_add_f64 v[96:97], v[82:83], -v[74:75]
	v_mul_f64 v[60:61], v[50:51], s[18:19]
	v_add_f64 v[38:39], v[94:95], v[42:43]
	v_add_f64 v[42:43], v[42:43], -v[94:95]
	v_add_f64 v[94:95], v[98:99], -v[106:107]
	v_mul_f64 v[50:51], v[68:69], s[14:15]
	v_add_f64 v[98:99], v[82:83], v[74:75]
	v_add_f64 v[74:75], v[80:81], v[72:73]
	v_mul_f64 v[96:97], v[96:97], s[24:25]
	v_fma_f64 v[56:57], v[56:57], s[6:7], v[60:61]
	v_fma_f64 v[44:45], v[44:45], s[20:21], -v[60:61]
	v_fma_f64 v[60:61], v[86:87], s[12:13], v[54:55]
	v_mul_f64 v[62:63], v[94:95], s[18:19]
	v_fma_f64 v[50:51], v[52:53], s[22:23], -v[50:51]
	v_fma_f64 v[52:53], v[52:53], s[16:17], v[92:93]
	v_add_f64 v[92:93], v[76:77], -v[112:113]
	v_add_f64 v[86:87], v[114:115], -v[110:111]
	v_add_f64 v[56:57], v[56:57], v[66:67]
	v_add_f64 v[68:69], v[44:45], v[66:67]
	v_add_f64 v[106:107], v[80:81], -v[72:73]
	v_fma_f64 v[46:47], v[46:47], s[20:21], -v[62:63]
	v_fma_f64 v[58:59], v[58:59], s[6:7], v[62:63]
	v_fma_f64 v[62:63], v[84:85], s[12:13], v[52:53]
	;; [unrolled: 1-line block ×3, first 2 shown]
	v_add_f64 v[84:85], v[112:113], -v[108:109]
	v_add_f64 v[52:53], v[56:57], v[60:61]
	v_add_f64 v[56:57], v[56:57], -v[60:61]
	v_add_f64 v[60:61], v[112:113], v[108:109]
	v_add_f64 v[44:45], v[68:69], v[48:49]
	v_add_f64 v[48:49], v[68:69], -v[48:49]
	v_add_f64 v[58:59], v[58:59], v[70:71]
	;; [unrolled: 3-line block ×3, first 2 shown]
	v_add_f64 v[90:91], v[90:91], -v[82:83]
	v_add_f64 v[68:69], v[76:77], v[60:61]
	v_add_f64 v[60:61], v[114:115], v[110:111]
	v_add_f64 v[76:77], v[108:109], -v[76:77]
	v_add_f64 v[54:55], v[58:59], -v[62:63]
	v_add_f64 v[58:59], v[62:63], v[58:59]
	v_add_f64 v[46:47], v[94:95], -v[50:51]
	v_add_f64 v[50:51], v[50:51], v[94:95]
	;; [unrolled: 2-line block ×3, first 2 shown]
	v_add_f64 v[70:71], v[78:79], v[60:61]
	ds_read_b128 v[60:63], v212 offset:544
	ds_read_b128 v[64:67], v212 offset:816
	v_add_f64 v[78:79], v[110:111], -v[78:79]
	v_add_f64 v[88:89], v[88:89], -v[80:81]
	v_mul_f64 v[76:77], v[76:77], s[18:19]
	s_waitcnt lgkmcnt(1)
	v_add_f64 v[60:61], v[60:61], v[68:69]
	v_mul_f64 v[80:81], v[100:101], s[14:15]
	v_mul_f64 v[106:107], v[106:107], s[24:25]
	v_add_f64 v[62:63], v[62:63], v[70:71]
	v_mul_f64 v[82:83], v[112:113], s[14:15]
	v_mul_f64 v[78:79], v[78:79], s[18:19]
	v_add_f64 v[110:111], v[136:137], -v[128:129]
	s_waitcnt lgkmcnt(0)
	v_fma_f64 v[102:103], v[68:69], s[28:29], v[60:61]
	v_mul_f64 v[68:69], v[92:93], s[6:7]
	v_fma_f64 v[80:81], v[90:91], s[22:23], -v[80:81]
	v_fma_f64 v[104:105], v[70:71], s[28:29], v[62:63]
	v_mul_f64 v[70:71], v[94:95], s[6:7]
	v_fma_f64 v[90:91], v[90:91], s[16:17], v[96:97]
	v_fma_f64 v[82:83], v[88:89], s[22:23], -v[82:83]
	v_fma_f64 v[88:89], v[88:89], s[16:17], v[106:107]
	; wave barrier
	v_fma_f64 v[68:69], v[84:85], s[26:27], -v[68:69]
	v_fma_f64 v[84:85], v[84:85], s[20:21], -v[76:77]
	v_fma_f64 v[76:77], v[92:93], s[6:7], v[76:77]
	v_fma_f64 v[70:71], v[86:87], s[26:27], -v[70:71]
	v_fma_f64 v[86:87], v[86:87], s[20:21], -v[78:79]
	v_fma_f64 v[78:79], v[94:95], s[6:7], v[78:79]
	v_fma_f64 v[92:93], v[98:99], s[12:13], v[90:91]
	;; [unrolled: 1-line block ×3, first 2 shown]
	v_add_f64 v[72:73], v[68:69], v[102:103]
	v_fma_f64 v[68:69], v[100:101], s[14:15], -v[96:97]
	v_add_f64 v[76:77], v[76:77], v[102:103]
	v_add_f64 v[96:97], v[138:139], -v[130:131]
	v_add_f64 v[74:75], v[70:71], v[104:105]
	v_add_f64 v[78:79], v[78:79], v[104:105]
	;; [unrolled: 1-line block ×4, first 2 shown]
	v_fma_f64 v[100:101], v[98:99], s[12:13], v[80:81]
	v_fma_f64 v[164:165], v[98:99], s[12:13], v[68:69]
	v_add_f64 v[88:89], v[76:77], v[92:93]
	v_add_f64 v[92:93], v[76:77], -v[92:93]
	v_add_f64 v[76:77], v[124:125], v[116:117]
	v_fma_f64 v[68:69], v[112:113], s[14:15], -v[106:107]
	v_add_f64 v[90:91], v[78:79], -v[94:95]
	v_add_f64 v[94:95], v[94:95], v[78:79]
	v_add_f64 v[78:79], v[126:127], v[118:119]
	v_add_f64 v[112:113], v[132:133], -v[124:125]
	v_fma_f64 v[108:109], v[114:115], s[12:13], v[82:83]
	v_add_f64 v[104:105], v[124:125], -v[116:117]
	v_add_f64 v[76:77], v[132:133], v[76:77]
	v_fma_f64 v[166:167], v[114:115], s[12:13], v[68:69]
	v_add_f64 v[114:115], v[134:135], -v[126:127]
	v_mul_f64 v[124:125], v[96:97], s[24:25]
	v_add_f64 v[78:79], v[134:135], v[78:79]
	v_mul_f64 v[96:97], v[112:113], s[6:7]
	v_add_f64 v[80:81], v[84:85], v[100:101]
	v_add_f64 v[82:83], v[86:87], -v[108:109]
	v_add_f64 v[64:65], v[64:65], v[76:77]
	v_add_f64 v[84:85], v[84:85], -v[100:101]
	;; [unrolled: 2-line block ×3, first 2 shown]
	v_add_f64 v[66:67], v[66:67], v[78:79]
	v_add_f64 v[98:99], v[138:139], v[130:131]
	v_add_f64 v[108:109], v[130:131], -v[122:123]
	v_fma_f64 v[96:97], v[104:105], s[26:27], -v[96:97]
	v_fma_f64 v[76:77], v[76:77], s[28:29], v[64:65]
	v_mul_f64 v[100:101], v[114:115], s[6:7]
	v_add_f64 v[102:103], v[136:137], v[128:129]
	v_add_f64 v[68:69], v[72:73], -v[164:165]
	v_add_f64 v[72:73], v[72:73], v[164:165]
	v_fma_f64 v[78:79], v[78:79], s[28:29], v[66:67]
	v_add_f64 v[126:127], v[128:129], -v[120:121]
	v_add_f64 v[130:131], v[98:99], v[122:123]
	v_mul_f64 v[164:165], v[110:111], s[24:25]
	v_fma_f64 v[100:101], v[106:107], s[26:27], -v[100:101]
	v_add_f64 v[128:129], v[102:103], v[120:121]
	v_add_f64 v[102:103], v[96:97], v[76:77]
	v_fma_f64 v[96:97], v[108:109], s[14:15], -v[124:125]
	v_add_f64 v[70:71], v[166:167], v[74:75]
	v_add_f64 v[74:75], v[74:75], -v[166:167]
	v_mul_f64 v[108:109], v[108:109], s[14:15]
	v_add_f64 v[110:111], v[100:101], v[78:79]
	v_fma_f64 v[100:101], v[130:131], s[12:13], v[96:97]
	v_fma_f64 v[96:97], v[126:127], s[14:15], -v[164:165]
	v_fma_f64 v[166:167], v[128:129], s[12:13], v[96:97]
	v_add_f64 v[96:97], v[102:103], -v[100:101]
	v_add_f64 v[100:101], v[102:103], v[100:101]
	v_add_f64 v[98:99], v[166:167], v[110:111]
	v_add_f64 v[102:103], v[110:111], -v[166:167]
	v_add_f64 v[110:111], v[116:117], -v[132:133]
	;; [unrolled: 1-line block ×8, first 2 shown]
	v_mul_f64 v[122:123], v[110:111], s[18:19]
	v_mul_f64 v[116:117], v[116:117], s[18:19]
	;; [unrolled: 1-line block ×3, first 2 shown]
	v_fma_f64 v[108:109], v[120:121], s[22:23], -v[108:109]
	v_fma_f64 v[104:105], v[104:105], s[20:21], -v[122:123]
	;; [unrolled: 1-line block ×3, first 2 shown]
	v_fma_f64 v[112:113], v[112:113], s[6:7], v[122:123]
	v_fma_f64 v[114:115], v[114:115], s[6:7], v[116:117]
	;; [unrolled: 1-line block ×3, first 2 shown]
	v_fma_f64 v[110:111], v[118:119], s[22:23], -v[110:111]
	v_fma_f64 v[118:119], v[118:119], s[16:17], v[164:165]
	v_add_f64 v[120:121], v[162:163], -v[154:155]
	v_add_f64 v[126:127], v[104:105], v[76:77]
	v_add_f64 v[132:133], v[106:107], v[78:79]
	;; [unrolled: 1-line block ×4, first 2 shown]
	v_fma_f64 v[116:117], v[130:131], s[12:13], v[116:117]
	v_fma_f64 v[108:109], v[130:131], s[12:13], v[108:109]
	;; [unrolled: 1-line block ×4, first 2 shown]
	v_add_f64 v[128:129], v[148:149], -v[140:141]
	v_add_f64 v[130:131], v[150:151], -v[142:143]
	v_add_f64 v[122:123], v[162:163], v[154:155]
	v_mul_f64 v[124:125], v[138:139], s[6:7]
	v_add_f64 v[112:113], v[76:77], v[116:117]
	v_add_f64 v[116:117], v[76:77], -v[116:117]
	v_add_f64 v[76:77], v[148:149], v[140:141]
	v_add_f64 v[114:115], v[78:79], -v[118:119]
	v_add_f64 v[118:119], v[118:119], v[78:79]
	v_add_f64 v[78:79], v[150:151], v[142:143]
	v_mul_f64 v[148:149], v[120:121], s[24:25]
	v_mul_f64 v[120:121], v[136:137], s[6:7]
	v_add_f64 v[104:105], v[126:127], v[108:109]
	v_add_f64 v[106:107], v[132:133], -v[110:111]
	v_add_f64 v[76:77], v[156:157], v[76:77]
	v_add_f64 v[108:109], v[126:127], -v[108:109]
	v_add_f64 v[110:111], v[110:111], v[132:133]
	v_add_f64 v[78:79], v[158:159], v[78:79]
	v_add_f64 v[132:133], v[154:155], -v[146:147]
	v_fma_f64 v[120:121], v[128:129], s[26:27], -v[120:121]
	v_add_f64 v[126:127], v[160:161], v[152:153]
	v_fma_f64 v[124:125], v[130:131], s[26:27], -v[124:125]
	v_add_f64 v[0:1], v[0:1], v[76:77]
	v_add_f64 v[150:151], v[152:153], -v[144:145]
	v_add_f64 v[154:155], v[122:123], v[146:147]
	v_add_f64 v[2:3], v[2:3], v[78:79]
	v_mul_f64 v[164:165], v[134:135], s[24:25]
	v_add_f64 v[152:153], v[126:127], v[144:145]
	v_fma_f64 v[76:77], v[76:77], s[28:29], v[0:1]
	v_fma_f64 v[78:79], v[78:79], s[28:29], v[2:3]
	v_add_f64 v[126:127], v[120:121], v[76:77]
	v_fma_f64 v[120:121], v[132:133], s[14:15], -v[148:149]
	v_mul_f64 v[132:133], v[132:133], s[14:15]
	v_add_f64 v[134:135], v[124:125], v[78:79]
	v_fma_f64 v[124:125], v[154:155], s[12:13], v[120:121]
	v_fma_f64 v[120:121], v[150:151], s[14:15], -v[164:165]
	v_fma_f64 v[166:167], v[152:153], s[12:13], v[120:121]
	v_add_f64 v[120:121], v[126:127], -v[124:125]
	v_add_f64 v[124:125], v[126:127], v[124:125]
	v_add_f64 v[122:123], v[166:167], v[134:135]
	v_add_f64 v[126:127], v[134:135], -v[166:167]
	v_add_f64 v[134:135], v[140:141], -v[156:157]
	;; [unrolled: 1-line block ×5, first 2 shown]
	v_mul_f64 v[146:147], v[134:135], s[18:19]
	v_mul_f64 v[140:141], v[140:141], s[18:19]
	;; [unrolled: 1-line block ×3, first 2 shown]
	v_fma_f64 v[132:133], v[144:145], s[22:23], -v[132:133]
	v_fma_f64 v[128:129], v[128:129], s[20:21], -v[146:147]
	;; [unrolled: 1-line block ×3, first 2 shown]
	v_fma_f64 v[136:137], v[136:137], s[6:7], v[146:147]
	v_fma_f64 v[138:139], v[138:139], s[6:7], v[140:141]
	;; [unrolled: 1-line block ×3, first 2 shown]
	v_fma_f64 v[134:135], v[142:143], s[22:23], -v[134:135]
	v_fma_f64 v[142:143], v[142:143], s[16:17], v[164:165]
	v_fma_f64 v[132:133], v[154:155], s[12:13], v[132:133]
	v_add_f64 v[150:151], v[128:129], v[76:77]
	v_add_f64 v[156:157], v[130:131], v[78:79]
	;; [unrolled: 1-line block ×4, first 2 shown]
	v_fma_f64 v[140:141], v[154:155], s[12:13], v[140:141]
	v_fma_f64 v[134:135], v[152:153], s[12:13], v[134:135]
	;; [unrolled: 1-line block ×3, first 2 shown]
	s_movk_i32 s6, 0x44
	v_add_f64 v[128:129], v[150:151], v[132:133]
	v_add_f64 v[132:133], v[150:151], -v[132:133]
	v_add_f64 v[136:137], v[76:77], v[140:141]
	v_add_f64 v[76:77], v[76:77], -v[140:141]
	v_mul_lo_u16_e32 v140, 7, v168
	v_lshl_add_u32 v140, v140, 4, v213
	v_add_f64 v[138:139], v[78:79], -v[142:143]
	v_add_f64 v[78:79], v[142:143], v[78:79]
	ds_write_b128 v140, v[4:7]
	ds_write_b128 v140, v[24:27] offset:16
	ds_write_b128 v140, v[16:19] offset:32
	;; [unrolled: 1-line block ×5, first 2 shown]
	v_mul_u32_u24_e32 v4, 7, v209
	v_lshl_add_u32 v4, v4, 4, v213
	v_add_co_u32_e32 v7, vcc, 34, v168
	v_add_f64 v[130:131], v[156:157], -v[134:135]
	buffer_store_dword v140, off, s[60:63], 0 offset:868 ; 4-byte Folded Spill
	ds_write_b128 v140, v[28:31] offset:96
	ds_write_b128 v4, v[8:11]
	ds_write_b128 v4, v[52:55] offset:16
	ds_write_b128 v4, v[44:47] offset:32
	;; [unrolled: 1-line block ×5, first 2 shown]
	buffer_store_dword v4, off, s[60:63], 0 offset:876 ; 4-byte Folded Spill
	ds_write_b128 v4, v[56:59] offset:96
	v_mul_u32_u24_e32 v4, 7, v7
	v_add_co_u32_e32 v6, vcc, 51, v168
	v_lshl_add_u32 v4, v4, 4, v213
	buffer_store_dword v7, off, s[60:63], 0 offset:4 ; 4-byte Folded Spill
	ds_write_b128 v4, v[60:63]
	ds_write_b128 v4, v[88:91] offset:16
	ds_write_b128 v4, v[80:83] offset:32
	;; [unrolled: 1-line block ×5, first 2 shown]
	buffer_store_dword v4, off, s[60:63], 0 offset:884 ; 4-byte Folded Spill
	ds_write_b128 v4, v[92:95] offset:96
	v_mul_u32_u24_e32 v4, 7, v6
	v_add_f64 v[134:135], v[134:135], v[156:157]
	v_add_co_u32_e32 v5, vcc, s6, v168
	v_lshl_add_u32 v4, v4, 4, v213
	buffer_store_dword v6, off, s[60:63], 0 offset:1512 ; 4-byte Folded Spill
	ds_write_b128 v4, v[64:67]
	ds_write_b128 v4, v[112:115] offset:16
	ds_write_b128 v4, v[104:107] offset:32
	ds_write_b128 v4, v[96:99] offset:48
	ds_write_b128 v4, v[100:103] offset:64
	ds_write_b128 v4, v[108:111] offset:80
	buffer_store_dword v4, off, s[60:63], 0 offset:892 ; 4-byte Folded Spill
	ds_write_b128 v4, v[116:119] offset:96
	v_mul_u32_u24_e32 v4, 7, v5
	v_lshl_add_u32 v4, v4, 4, v213
	buffer_store_dword v5, off, s[60:63], 0 offset:1560 ; 4-byte Folded Spill
	ds_write_b128 v4, v[0:3]
	ds_write_b128 v4, v[136:139] offset:16
	ds_write_b128 v4, v[128:131] offset:32
	;; [unrolled: 1-line block ×5, first 2 shown]
	buffer_store_dword v4, off, s[60:63], 0 offset:896 ; 4-byte Folded Spill
	ds_write_b128 v4, v[76:79] offset:96
	s_waitcnt lgkmcnt(0)
	; wave barrier
	s_waitcnt lgkmcnt(0)
	ds_read_b128 v[84:87], v212
	ds_read_b128 v[88:91], v212 offset:272
	ds_read_b128 v[200:203], v212 offset:560
	;; [unrolled: 1-line block ×21, first 2 shown]
	buffer_store_dword v168, off, s[60:63], 0 ; 4-byte Folded Spill
	v_cmp_eq_u16_e32 vcc, 0, v168
	ds_read_b128 v[168:171], v212 offset:6160
	ds_read_b128 v[64:67], v212 offset:6432
	;; [unrolled: 1-line block ×12, first 2 shown]
                                        ; implicit-def: $vgpr80_vgpr81
                                        ; implicit-def: $vgpr96_vgpr97
                                        ; implicit-def: $vgpr104_vgpr105
                                        ; implicit-def: $vgpr108_vgpr109
                                        ; implicit-def: $vgpr24_vgpr25
                                        ; implicit-def: $vgpr32_vgpr33
                                        ; implicit-def: $vgpr92_vgpr93
                                        ; implicit-def: $vgpr100_vgpr101
                                        ; implicit-def: $vgpr8_vgpr9
                                        ; implicit-def: $vgpr16_vgpr17
                                        ; implicit-def: $vgpr28_vgpr29
                                        ; implicit-def: $vgpr36_vgpr37
                                        ; implicit-def: $vgpr0_vgpr1
                                        ; implicit-def: $vgpr4_vgpr5
                                        ; implicit-def: $vgpr12_vgpr13
                                        ; implicit-def: $vgpr20_vgpr21
	s_and_saveexec_b64 s[6:7], vcc
	s_cbranch_execz .LBB0_3
; %bb.2:
	ds_read_b128 v[76:79], v213 offset:544
	ds_read_b128 v[80:83], v213 offset:1104
	;; [unrolled: 1-line block ×17, first 2 shown]
.LBB0_3:
	s_or_b64 exec, exec, s[6:7]
	buffer_load_dword v207, off, s[60:63], 0 ; 4-byte Folded Reload
	v_mov_b32_e32 v206, 37
	s_mov_b32 s36, 0x5d8e7cdc
	s_mov_b32 s48, 0x2a9d6da3
	;; [unrolled: 1-line block ×48, first 2 shown]
	s_waitcnt vmcnt(0)
	v_mul_lo_u16_sdwa v204, v207, v206 dst_sel:DWORD dst_unused:UNUSED_PAD src0_sel:BYTE_0 src1_sel:DWORD
	v_sub_u16_sdwa v205, v207, v204 dst_sel:DWORD dst_unused:UNUSED_PAD src0_sel:DWORD src1_sel:BYTE_1
	v_lshrrev_b16_e32 v205, 1, v205
	v_and_b32_e32 v205, 0x7f, v205
	v_add_u16_sdwa v204, v205, v204 dst_sel:DWORD dst_unused:UNUSED_PAD src0_sel:DWORD src1_sel:BYTE_1
	v_lshrrev_b16_e32 v204, 2, v204
	buffer_store_dword v204, off, s[60:63], 0 offset:1432 ; 4-byte Folded Spill
	v_mul_lo_u16_e32 v204, 7, v204
	v_sub_u16_e32 v204, v207, v204
	v_mov_b32_e32 v207, 8
	buffer_store_dword v204, off, s[60:63], 0 offset:1448 ; 4-byte Folded Spill
	v_lshlrev_b32_sdwa v208, v207, v204 dst_sel:DWORD dst_unused:UNUSED_PAD src0_sel:DWORD src1_sel:BYTE_0
	global_load_dwordx4 v[214:217], v208, s[2:3] offset:48
	global_load_dwordx4 v[218:221], v208, s[2:3] offset:32
	;; [unrolled: 1-line block ×3, first 2 shown]
	global_load_dwordx4 v[226:229], v208, s[2:3]
	s_waitcnt vmcnt(0) lgkmcnt(14)
	v_mul_f64 v[204:205], v[202:203], v[228:229]
	v_fma_f64 v[204:205], v[200:201], v[226:227], -v[204:205]
	v_mul_f64 v[200:201], v[200:201], v[228:229]
	buffer_store_dword v226, off, s[60:63], 0 offset:996 ; 4-byte Folded Spill
	s_nop 0
	buffer_store_dword v227, off, s[60:63], 0 offset:1000 ; 4-byte Folded Spill
	buffer_store_dword v228, off, s[60:63], 0 offset:1004 ; 4-byte Folded Spill
	buffer_store_dword v229, off, s[60:63], 0 offset:1008 ; 4-byte Folded Spill
	v_fma_f64 v[200:201], v[202:203], v[226:227], v[200:201]
	v_mul_f64 v[202:203], v[198:199], v[224:225]
	v_fma_f64 v[202:203], v[196:197], v[222:223], -v[202:203]
	v_mul_f64 v[196:197], v[196:197], v[224:225]
	buffer_store_dword v222, off, s[60:63], 0 offset:948 ; 4-byte Folded Spill
	s_nop 0
	buffer_store_dword v223, off, s[60:63], 0 offset:952 ; 4-byte Folded Spill
	buffer_store_dword v224, off, s[60:63], 0 offset:956 ; 4-byte Folded Spill
	buffer_store_dword v225, off, s[60:63], 0 offset:960 ; 4-byte Folded Spill
	v_fma_f64 v[196:197], v[198:199], v[222:223], v[196:197]
	;; [unrolled: 9-line block ×4, first 2 shown]
	global_load_dwordx4 v[190:193], v208, s[2:3] offset:112
	global_load_dwordx4 v[214:217], v208, s[2:3] offset:96
	;; [unrolled: 1-line block ×4, first 2 shown]
	s_waitcnt vmcnt(0)
	v_mul_f64 v[188:189], v[186:187], v[224:225]
	v_fma_f64 v[246:247], v[184:185], v[222:223], -v[188:189]
	v_mul_f64 v[184:185], v[184:185], v[224:225]
	buffer_store_dword v222, off, s[60:63], 0 offset:1092 ; 4-byte Folded Spill
	s_nop 0
	buffer_store_dword v223, off, s[60:63], 0 offset:1096 ; 4-byte Folded Spill
	buffer_store_dword v224, off, s[60:63], 0 offset:1100 ; 4-byte Folded Spill
	buffer_store_dword v225, off, s[60:63], 0 offset:1104 ; 4-byte Folded Spill
	v_fma_f64 v[240:241], v[186:187], v[222:223], v[184:185]
	v_mul_f64 v[184:185], v[182:183], v[220:221]
	v_fma_f64 v[236:237], v[180:181], v[218:219], -v[184:185]
	v_mul_f64 v[180:181], v[180:181], v[220:221]
	buffer_store_dword v218, off, s[60:63], 0 offset:980 ; 4-byte Folded Spill
	s_nop 0
	buffer_store_dword v219, off, s[60:63], 0 offset:984 ; 4-byte Folded Spill
	buffer_store_dword v220, off, s[60:63], 0 offset:988 ; 4-byte Folded Spill
	buffer_store_dword v221, off, s[60:63], 0 offset:992 ; 4-byte Folded Spill
	v_fma_f64 v[232:233], v[182:183], v[218:219], v[180:181]
	v_mul_f64 v[180:181], v[178:179], v[216:217]
	v_fma_f64 v[228:229], v[176:177], v[214:215], -v[180:181]
	v_mul_f64 v[176:177], v[176:177], v[216:217]
	buffer_store_dword v214, off, s[60:63], 0 offset:964 ; 4-byte Folded Spill
	s_nop 0
	buffer_store_dword v215, off, s[60:63], 0 offset:968 ; 4-byte Folded Spill
	buffer_store_dword v216, off, s[60:63], 0 offset:972 ; 4-byte Folded Spill
	buffer_store_dword v217, off, s[60:63], 0 offset:976 ; 4-byte Folded Spill
	v_fma_f64 v[224:225], v[178:179], v[214:215], v[176:177]
	v_mul_f64 v[176:177], v[174:175], v[192:193]
	v_fma_f64 v[220:221], v[172:173], v[190:191], -v[176:177]
	v_mul_f64 v[172:173], v[172:173], v[192:193]
	buffer_store_dword v190, off, s[60:63], 0 offset:932 ; 4-byte Folded Spill
	s_nop 0
	buffer_store_dword v191, off, s[60:63], 0 offset:936 ; 4-byte Folded Spill
	buffer_store_dword v192, off, s[60:63], 0 offset:940 ; 4-byte Folded Spill
	buffer_store_dword v193, off, s[60:63], 0 offset:944 ; 4-byte Folded Spill
	v_fma_f64 v[216:217], v[174:175], v[190:191], v[172:173]
	global_load_dwordx4 v[174:177], v208, s[2:3] offset:176
	global_load_dwordx4 v[178:181], v208, s[2:3] offset:160
	;; [unrolled: 1-line block ×4, first 2 shown]
	s_waitcnt vmcnt(0)
	v_mul_f64 v[172:173], v[166:167], v[188:189]
	v_fma_f64 v[222:223], v[164:165], v[186:187], -v[172:173]
	v_mul_f64 v[164:165], v[164:165], v[188:189]
	buffer_store_dword v186, off, s[60:63], 0 offset:1188 ; 4-byte Folded Spill
	s_nop 0
	buffer_store_dword v187, off, s[60:63], 0 offset:1192 ; 4-byte Folded Spill
	buffer_store_dword v188, off, s[60:63], 0 offset:1196 ; 4-byte Folded Spill
	buffer_store_dword v189, off, s[60:63], 0 offset:1200 ; 4-byte Folded Spill
	v_fma_f64 v[218:219], v[166:167], v[186:187], v[164:165]
	s_waitcnt lgkmcnt(13)
	v_mul_f64 v[164:165], v[158:159], v[184:185]
	v_fma_f64 v[230:231], v[156:157], v[182:183], -v[164:165]
	v_mul_f64 v[156:157], v[156:157], v[184:185]
	buffer_store_dword v182, off, s[60:63], 0 offset:1156 ; 4-byte Folded Spill
	s_nop 0
	buffer_store_dword v183, off, s[60:63], 0 offset:1160 ; 4-byte Folded Spill
	buffer_store_dword v184, off, s[60:63], 0 offset:1164 ; 4-byte Folded Spill
	buffer_store_dword v185, off, s[60:63], 0 offset:1168 ; 4-byte Folded Spill
	v_fma_f64 v[226:227], v[158:159], v[182:183], v[156:157]
	s_waitcnt lgkmcnt(11)
	;; [unrolled: 10-line block ×3, first 2 shown]
	v_mul_f64 v[156:157], v[162:163], v[176:177]
	v_fma_f64 v[248:249], v[160:161], v[174:175], -v[156:157]
	v_mul_f64 v[156:157], v[160:161], v[176:177]
	buffer_store_dword v174, off, s[60:63], 0 offset:1012 ; 4-byte Folded Spill
	s_nop 0
	buffer_store_dword v175, off, s[60:63], 0 offset:1016 ; 4-byte Folded Spill
	buffer_store_dword v176, off, s[60:63], 0 offset:1020 ; 4-byte Folded Spill
	;; [unrolled: 1-line block ×3, first 2 shown]
	v_fma_f64 v[242:243], v[162:163], v[174:175], v[156:157]
	global_load_dwordx4 v[158:161], v208, s[2:3] offset:240
	global_load_dwordx4 v[162:165], v208, s[2:3] offset:224
	;; [unrolled: 1-line block ×4, first 2 shown]
	s_waitcnt vmcnt(0) lgkmcnt(7)
	v_mul_f64 v[156:157], v[154:155], v[172:173]
	v_fma_f64 v[156:157], v[152:153], v[170:171], -v[156:157]
	v_mul_f64 v[152:153], v[152:153], v[172:173]
	buffer_store_dword v170, off, s[60:63], 0 offset:1108 ; 4-byte Folded Spill
	s_nop 0
	buffer_store_dword v171, off, s[60:63], 0 offset:1112 ; 4-byte Folded Spill
	buffer_store_dword v172, off, s[60:63], 0 offset:1116 ; 4-byte Folded Spill
	buffer_store_dword v173, off, s[60:63], 0 offset:1120 ; 4-byte Folded Spill
	v_fma_f64 v[152:153], v[154:155], v[170:171], v[152:153]
	s_waitcnt lgkmcnt(5)
	v_mul_f64 v[154:155], v[150:151], v[168:169]
	v_fma_f64 v[154:155], v[148:149], v[166:167], -v[154:155]
	v_mul_f64 v[148:149], v[148:149], v[168:169]
	buffer_store_dword v166, off, s[60:63], 0 offset:1076 ; 4-byte Folded Spill
	s_nop 0
	buffer_store_dword v167, off, s[60:63], 0 offset:1080 ; 4-byte Folded Spill
	buffer_store_dword v168, off, s[60:63], 0 offset:1084 ; 4-byte Folded Spill
	buffer_store_dword v169, off, s[60:63], 0 offset:1088 ; 4-byte Folded Spill
	v_fma_f64 v[148:149], v[150:151], v[166:167], v[148:149]
	s_waitcnt lgkmcnt(3)
	;; [unrolled: 10-line block ×3, first 2 shown]
	v_mul_f64 v[146:147], v[142:143], v[160:161]
	v_fma_f64 v[146:147], v[140:141], v[158:159], -v[146:147]
	v_mul_f64 v[140:141], v[140:141], v[160:161]
	buffer_store_dword v158, off, s[60:63], 0 offset:1044 ; 4-byte Folded Spill
	s_nop 0
	buffer_store_dword v159, off, s[60:63], 0 offset:1048 ; 4-byte Folded Spill
	buffer_store_dword v160, off, s[60:63], 0 offset:1052 ; 4-byte Folded Spill
	;; [unrolled: 1-line block ×4, first 2 shown]
	v_fma_f64 v[140:141], v[142:143], v[158:159], v[140:141]
	v_mul_lo_u16_sdwa v142, v209, v206 dst_sel:DWORD dst_unused:UNUSED_PAD src0_sel:BYTE_0 src1_sel:DWORD
	v_sub_u16_sdwa v143, v209, v142 dst_sel:DWORD dst_unused:UNUSED_PAD src0_sel:DWORD src1_sel:BYTE_1
	v_lshrrev_b16_e32 v143, 1, v143
	v_and_b32_e32 v143, 0x7f, v143
	v_add_u16_sdwa v142, v143, v142 dst_sel:DWORD dst_unused:UNUSED_PAD src0_sel:DWORD src1_sel:BYTE_1
	v_lshrrev_b16_e32 v142, 2, v142
	buffer_store_dword v142, off, s[60:63], 0 offset:1464 ; 4-byte Folded Spill
	v_mul_lo_u16_e32 v142, 7, v142
	v_sub_u16_e32 v142, v209, v142
	buffer_store_dword v142, off, s[60:63], 0 offset:1480 ; 4-byte Folded Spill
	v_lshlrev_b32_sdwa v188, v207, v142 dst_sel:DWORD dst_unused:UNUSED_PAD src0_sel:DWORD src1_sel:BYTE_0
	global_load_dwordx4 v[158:161], v188, s[2:3] offset:48
	global_load_dwordx4 v[162:165], v188, s[2:3] offset:32
	;; [unrolled: 1-line block ×3, first 2 shown]
	global_load_dwordx4 v[170:173], v188, s[2:3]
	s_waitcnt vmcnt(0)
	v_mul_f64 v[142:143], v[138:139], v[172:173]
	v_fma_f64 v[210:211], v[136:137], v[170:171], -v[142:143]
	v_mul_f64 v[136:137], v[136:137], v[172:173]
	buffer_store_dword v170, off, s[60:63], 0 offset:1204 ; 4-byte Folded Spill
	s_nop 0
	buffer_store_dword v171, off, s[60:63], 0 offset:1208 ; 4-byte Folded Spill
	buffer_store_dword v172, off, s[60:63], 0 offset:1212 ; 4-byte Folded Spill
	buffer_store_dword v173, off, s[60:63], 0 offset:1216 ; 4-byte Folded Spill
	v_fma_f64 v[208:209], v[138:139], v[170:171], v[136:137]
	v_mul_f64 v[136:137], v[134:135], v[168:169]
	v_fma_f64 v[136:137], v[132:133], v[166:167], -v[136:137]
	v_mul_f64 v[132:133], v[132:133], v[168:169]
	buffer_store_dword v166, off, s[60:63], 0 offset:1172 ; 4-byte Folded Spill
	s_nop 0
	buffer_store_dword v167, off, s[60:63], 0 offset:1176 ; 4-byte Folded Spill
	buffer_store_dword v168, off, s[60:63], 0 offset:1180 ; 4-byte Folded Spill
	buffer_store_dword v169, off, s[60:63], 0 offset:1184 ; 4-byte Folded Spill
	v_fma_f64 v[198:199], v[134:135], v[166:167], v[132:133]
	v_mul_f64 v[132:133], v[130:131], v[164:165]
	v_fma_f64 v[194:195], v[128:129], v[162:163], -v[132:133]
	v_mul_f64 v[128:129], v[128:129], v[164:165]
	buffer_store_dword v162, off, s[60:63], 0 offset:1140 ; 4-byte Folded Spill
	s_nop 0
	buffer_store_dword v163, off, s[60:63], 0 offset:1144 ; 4-byte Folded Spill
	buffer_store_dword v164, off, s[60:63], 0 offset:1148 ; 4-byte Folded Spill
	buffer_store_dword v165, off, s[60:63], 0 offset:1152 ; 4-byte Folded Spill
	v_fma_f64 v[190:191], v[130:131], v[162:163], v[128:129]
	v_mul_f64 v[128:129], v[126:127], v[160:161]
	v_fma_f64 v[186:187], v[124:125], v[158:159], -v[128:129]
	v_mul_f64 v[124:125], v[124:125], v[160:161]
	buffer_store_dword v158, off, s[60:63], 0 offset:1124 ; 4-byte Folded Spill
	s_nop 0
	buffer_store_dword v159, off, s[60:63], 0 offset:1128 ; 4-byte Folded Spill
	buffer_store_dword v160, off, s[60:63], 0 offset:1132 ; 4-byte Folded Spill
	buffer_store_dword v161, off, s[60:63], 0 offset:1136 ; 4-byte Folded Spill
	v_fma_f64 v[182:183], v[126:127], v[158:159], v[124:125]
	global_load_dwordx4 v[126:129], v188, s[2:3] offset:112
	global_load_dwordx4 v[130:133], v188, s[2:3] offset:96
	global_load_dwordx4 v[158:161], v188, s[2:3] offset:80
	global_load_dwordx4 v[162:165], v188, s[2:3] offset:64
	s_waitcnt vmcnt(0)
	v_mul_f64 v[124:125], v[122:123], v[164:165]
	v_fma_f64 v[180:181], v[120:121], v[162:163], -v[124:125]
	v_mul_f64 v[120:121], v[120:121], v[164:165]
	buffer_store_dword v162, off, s[60:63], 0 offset:1268 ; 4-byte Folded Spill
	s_nop 0
	buffer_store_dword v163, off, s[60:63], 0 offset:1272 ; 4-byte Folded Spill
	buffer_store_dword v164, off, s[60:63], 0 offset:1276 ; 4-byte Folded Spill
	buffer_store_dword v165, off, s[60:63], 0 offset:1280 ; 4-byte Folded Spill
	v_fma_f64 v[176:177], v[122:123], v[162:163], v[120:121]
	v_mul_f64 v[120:121], v[118:119], v[160:161]
	v_fma_f64 v[172:173], v[116:117], v[158:159], -v[120:121]
	v_mul_f64 v[116:117], v[116:117], v[160:161]
	buffer_store_dword v158, off, s[60:63], 0 offset:1252 ; 4-byte Folded Spill
	s_nop 0
	buffer_store_dword v159, off, s[60:63], 0 offset:1256 ; 4-byte Folded Spill
	buffer_store_dword v160, off, s[60:63], 0 offset:1260 ; 4-byte Folded Spill
	buffer_store_dword v161, off, s[60:63], 0 offset:1264 ; 4-byte Folded Spill
	v_fma_f64 v[168:169], v[118:119], v[158:159], v[116:117]
	v_mul_f64 v[116:117], v[74:75], v[132:133]
	v_fma_f64 v[164:165], v[72:73], v[130:131], -v[116:117]
	v_mul_f64 v[72:73], v[72:73], v[132:133]
	buffer_store_dword v130, off, s[60:63], 0 offset:1236 ; 4-byte Folded Spill
	s_nop 0
	buffer_store_dword v131, off, s[60:63], 0 offset:1240 ; 4-byte Folded Spill
	buffer_store_dword v132, off, s[60:63], 0 offset:1244 ; 4-byte Folded Spill
	buffer_store_dword v133, off, s[60:63], 0 offset:1248 ; 4-byte Folded Spill
	v_fma_f64 v[160:161], v[74:75], v[130:131], v[72:73]
	v_mul_f64 v[72:73], v[70:71], v[128:129]
	v_fma_f64 v[116:117], v[68:69], v[126:127], -v[72:73]
	v_mul_f64 v[68:69], v[68:69], v[128:129]
	buffer_store_dword v126, off, s[60:63], 0 offset:1220 ; 4-byte Folded Spill
	s_nop 0
	buffer_store_dword v127, off, s[60:63], 0 offset:1224 ; 4-byte Folded Spill
	buffer_store_dword v128, off, s[60:63], 0 offset:1228 ; 4-byte Folded Spill
	buffer_store_dword v129, off, s[60:63], 0 offset:1232 ; 4-byte Folded Spill
	v_fma_f64 v[72:73], v[70:71], v[126:127], v[68:69]
	global_load_dwordx4 v[118:121], v188, s[2:3] offset:176
	global_load_dwordx4 v[122:125], v188, s[2:3] offset:160
	global_load_dwordx4 v[126:129], v188, s[2:3] offset:144
	global_load_dwordx4 v[130:133], v188, s[2:3] offset:128
	;; [unrolled: 41-line block ×3, first 2 shown]
	s_waitcnt vmcnt(0)
	v_mul_f64 v[52:53], v[50:51], v[68:69]
	v_fma_f64 v[192:193], v[48:49], v[66:67], -v[52:53]
	v_mul_f64 v[48:49], v[48:49], v[68:69]
	buffer_store_dword v66, off, s[60:63], 0 offset:1396 ; 4-byte Folded Spill
	s_nop 0
	buffer_store_dword v67, off, s[60:63], 0 offset:1400 ; 4-byte Folded Spill
	buffer_store_dword v68, off, s[60:63], 0 offset:1404 ; 4-byte Folded Spill
	buffer_store_dword v69, off, s[60:63], 0 offset:1408 ; 4-byte Folded Spill
	v_fma_f64 v[188:189], v[50:51], v[66:67], v[48:49]
	v_mul_f64 v[48:49], v[46:47], v[64:65]
	v_fma_f64 v[48:49], v[44:45], v[62:63], -v[48:49]
	v_mul_f64 v[44:45], v[44:45], v[64:65]
	buffer_store_dword v62, off, s[60:63], 0 offset:1380 ; 4-byte Folded Spill
	s_nop 0
	buffer_store_dword v63, off, s[60:63], 0 offset:1384 ; 4-byte Folded Spill
	buffer_store_dword v64, off, s[60:63], 0 offset:1388 ; 4-byte Folded Spill
	;; [unrolled: 1-line block ×3, first 2 shown]
	v_fma_f64 v[118:119], v[46:47], v[62:63], v[44:45]
	v_mul_f64 v[44:45], v[114:115], v[60:61]
	s_waitcnt lgkmcnt(0)
	v_mul_f64 v[46:47], v[42:43], v[56:57]
	v_fma_f64 v[50:51], v[112:113], v[58:59], -v[44:45]
	v_mul_f64 v[44:45], v[112:113], v[60:61]
	buffer_store_dword v58, off, s[60:63], 0 offset:1364 ; 4-byte Folded Spill
	s_nop 0
	buffer_store_dword v59, off, s[60:63], 0 offset:1368 ; 4-byte Folded Spill
	buffer_store_dword v60, off, s[60:63], 0 offset:1372 ; 4-byte Folded Spill
	;; [unrolled: 1-line block ×3, first 2 shown]
	v_fma_f64 v[214:215], v[40:41], v[54:55], -v[46:47]
	v_mul_f64 v[40:41], v[40:41], v[56:57]
	buffer_store_dword v54, off, s[60:63], 0 offset:1332 ; 4-byte Folded Spill
	s_nop 0
	buffer_store_dword v55, off, s[60:63], 0 offset:1336 ; 4-byte Folded Spill
	buffer_store_dword v56, off, s[60:63], 0 offset:1340 ; 4-byte Folded Spill
	;; [unrolled: 1-line block ×3, first 2 shown]
	buffer_load_dword v46, off, s[60:63], 0 offset:4 ; 4-byte Folded Reload
	v_fma_f64 v[44:45], v[114:115], v[58:59], v[44:45]
	v_fma_f64 v[42:43], v[42:43], v[54:55], v[40:41]
	s_waitcnt vmcnt(0)
	v_mul_lo_u16_sdwa v40, v46, v206 dst_sel:DWORD dst_unused:UNUSED_PAD src0_sel:BYTE_0 src1_sel:DWORD
	v_sub_u16_sdwa v41, v46, v40 dst_sel:DWORD dst_unused:UNUSED_PAD src0_sel:DWORD src1_sel:BYTE_1
	v_lshrrev_b16_e32 v41, 1, v41
	v_and_b32_e32 v41, 0x7f, v41
	v_add_u16_sdwa v40, v41, v40 dst_sel:DWORD dst_unused:UNUSED_PAD src0_sel:DWORD src1_sel:BYTE_1
	v_lshrrev_b16_e32 v40, 2, v40
	v_mul_lo_u16_e32 v40, 7, v40
	v_sub_u16_e32 v40, v46, v40
	buffer_store_dword v40, off, s[60:63], 0 offset:864 ; 4-byte Folded Spill
	v_lshlrev_b16_e32 v40, 4, v40
	v_and_b32_e32 v40, 0xf0, v40
	v_lshlrev_b32_e32 v46, 4, v40
	global_load_dwordx4 v[52:55], v46, s[2:3] offset:48
	global_load_dwordx4 v[56:59], v46, s[2:3] offset:32
	global_load_dwordx4 v[60:63], v46, s[2:3] offset:16
	global_load_dwordx4 v[64:67], v46, s[2:3]
	s_waitcnt vmcnt(0)
	v_mul_f64 v[40:41], v[82:83], v[66:67]
	v_fma_f64 v[70:71], v[80:81], v[64:65], -v[40:41]
	v_mul_f64 v[40:41], v[80:81], v[66:67]
	buffer_store_dword v64, off, s[60:63], 0 offset:1856 ; 4-byte Folded Spill
	s_nop 0
	buffer_store_dword v65, off, s[60:63], 0 offset:1860 ; 4-byte Folded Spill
	buffer_store_dword v66, off, s[60:63], 0 offset:1864 ; 4-byte Folded Spill
	;; [unrolled: 1-line block ×3, first 2 shown]
	v_fma_f64 v[80:81], v[82:83], v[64:65], v[40:41]
	v_mul_f64 v[40:41], v[98:99], v[62:63]
	v_fma_f64 v[40:41], v[96:97], v[60:61], -v[40:41]
	buffer_store_dword v40, off, s[60:63], 0 offset:1784 ; 4-byte Folded Spill
	s_nop 0
	buffer_store_dword v41, off, s[60:63], 0 offset:1788 ; 4-byte Folded Spill
	v_mul_f64 v[40:41], v[96:97], v[62:63]
	buffer_store_dword v60, off, s[60:63], 0 offset:1824 ; 4-byte Folded Spill
	s_nop 0
	buffer_store_dword v61, off, s[60:63], 0 offset:1828 ; 4-byte Folded Spill
	buffer_store_dword v62, off, s[60:63], 0 offset:1832 ; 4-byte Folded Spill
	;; [unrolled: 1-line block ×3, first 2 shown]
	v_fma_f64 v[82:83], v[98:99], v[60:61], v[40:41]
	v_mul_f64 v[40:41], v[106:107], v[58:59]
	v_fma_f64 v[40:41], v[104:105], v[56:57], -v[40:41]
	buffer_store_dword v40, off, s[60:63], 0 offset:1776 ; 4-byte Folded Spill
	s_nop 0
	buffer_store_dword v41, off, s[60:63], 0 offset:1780 ; 4-byte Folded Spill
	v_mul_f64 v[40:41], v[104:105], v[58:59]
	buffer_store_dword v56, off, s[60:63], 0 offset:1808 ; 4-byte Folded Spill
	s_nop 0
	buffer_store_dword v57, off, s[60:63], 0 offset:1812 ; 4-byte Folded Spill
	buffer_store_dword v58, off, s[60:63], 0 offset:1816 ; 4-byte Folded Spill
	;; [unrolled: 1-line block ×3, first 2 shown]
	v_fma_f64 v[40:41], v[106:107], v[56:57], v[40:41]
	buffer_store_dword v40, off, s[60:63], 0 offset:276 ; 4-byte Folded Spill
	s_nop 0
	buffer_store_dword v41, off, s[60:63], 0 offset:280 ; 4-byte Folded Spill
	v_mul_f64 v[40:41], v[110:111], v[54:55]
	v_fma_f64 v[96:97], v[108:109], v[52:53], -v[40:41]
	v_mul_f64 v[40:41], v[108:109], v[54:55]
	buffer_store_dword v52, off, s[60:63], 0 offset:1792 ; 4-byte Folded Spill
	s_nop 0
	buffer_store_dword v53, off, s[60:63], 0 offset:1796 ; 4-byte Folded Spill
	buffer_store_dword v54, off, s[60:63], 0 offset:1800 ; 4-byte Folded Spill
	;; [unrolled: 1-line block ×3, first 2 shown]
	v_fma_f64 v[40:41], v[110:111], v[52:53], v[40:41]
	buffer_store_dword v40, off, s[60:63], 0 offset:1768 ; 4-byte Folded Spill
	s_nop 0
	buffer_store_dword v41, off, s[60:63], 0 offset:1772 ; 4-byte Folded Spill
	global_load_dwordx4 v[54:57], v46, s[2:3] offset:112
	global_load_dwordx4 v[58:61], v46, s[2:3] offset:96
	;; [unrolled: 1-line block ×4, first 2 shown]
	s_waitcnt vmcnt(0)
	v_mul_f64 v[52:53], v[26:27], v[68:69]
	v_fma_f64 v[40:41], v[24:25], v[66:67], -v[52:53]
	buffer_store_dword v40, off, s[60:63], 0 offset:1688 ; 4-byte Folded Spill
	s_nop 0
	buffer_store_dword v41, off, s[60:63], 0 offset:1692 ; 4-byte Folded Spill
	v_mul_f64 v[24:25], v[24:25], v[68:69]
	buffer_store_dword v66, off, s[60:63], 0 offset:1904 ; 4-byte Folded Spill
	s_nop 0
	buffer_store_dword v67, off, s[60:63], 0 offset:1908 ; 4-byte Folded Spill
	buffer_store_dword v68, off, s[60:63], 0 offset:1912 ; 4-byte Folded Spill
	;; [unrolled: 1-line block ×3, first 2 shown]
	v_mul_f64 v[52:53], v[92:93], v[60:61]
	v_mov_b32_e32 v68, v96
	v_mov_b32_e32 v69, v97
	v_fma_f64 v[66:67], v[26:27], v[66:67], v[24:25]
	v_mul_f64 v[26:27], v[34:35], v[64:65]
	v_fma_f64 v[24:25], v[32:33], v[62:63], -v[26:27]
	buffer_store_dword v24, off, s[60:63], 0 offset:1656 ; 4-byte Folded Spill
	s_nop 0
	buffer_store_dword v25, off, s[60:63], 0 offset:1660 ; 4-byte Folded Spill
	v_mul_f64 v[32:33], v[32:33], v[64:65]
	buffer_store_dword v62, off, s[60:63], 0 offset:1888 ; 4-byte Folded Spill
	s_nop 0
	buffer_store_dword v63, off, s[60:63], 0 offset:1892 ; 4-byte Folded Spill
	buffer_store_dword v64, off, s[60:63], 0 offset:1896 ; 4-byte Folded Spill
	;; [unrolled: 1-line block ×3, first 2 shown]
	v_fma_f64 v[24:25], v[34:35], v[62:63], v[32:33]
	v_mul_f64 v[34:35], v[94:95], v[60:61]
	buffer_store_dword v24, off, s[60:63], 0 offset:1672 ; 4-byte Folded Spill
	s_nop 0
	buffer_store_dword v25, off, s[60:63], 0 offset:1676 ; 4-byte Folded Spill
	v_fma_f64 v[64:65], v[92:93], v[58:59], -v[34:35]
	buffer_store_dword v58, off, s[60:63], 0 offset:1872 ; 4-byte Folded Spill
	s_nop 0
	buffer_store_dword v59, off, s[60:63], 0 offset:1876 ; 4-byte Folded Spill
	buffer_store_dword v60, off, s[60:63], 0 offset:1880 ; 4-byte Folded Spill
	;; [unrolled: 1-line block ×3, first 2 shown]
	v_fma_f64 v[24:25], v[94:95], v[58:59], v[52:53]
	v_mul_f64 v[52:53], v[102:103], v[56:57]
	buffer_store_dword v24, off, s[60:63], 0 offset:1608 ; 4-byte Folded Spill
	s_nop 0
	buffer_store_dword v25, off, s[60:63], 0 offset:1612 ; 4-byte Folded Spill
	v_fma_f64 v[24:25], v[100:101], v[54:55], -v[52:53]
	buffer_store_dword v24, off, s[60:63], 0 offset:1528 ; 4-byte Folded Spill
	s_nop 0
	buffer_store_dword v25, off, s[60:63], 0 offset:1532 ; 4-byte Folded Spill
	v_mul_f64 v[52:53], v[100:101], v[56:57]
	buffer_store_dword v54, off, s[60:63], 0 offset:1840 ; 4-byte Folded Spill
	s_nop 0
	buffer_store_dword v55, off, s[60:63], 0 offset:1844 ; 4-byte Folded Spill
	buffer_store_dword v56, off, s[60:63], 0 offset:1848 ; 4-byte Folded Spill
	;; [unrolled: 1-line block ×3, first 2 shown]
	v_fma_f64 v[24:25], v[102:103], v[54:55], v[52:53]
	buffer_store_dword v24, off, s[60:63], 0 offset:1544 ; 4-byte Folded Spill
	s_nop 0
	buffer_store_dword v25, off, s[60:63], 0 offset:1548 ; 4-byte Folded Spill
	global_load_dwordx4 v[58:61], v46, s[2:3] offset:176
	global_load_dwordx4 v[32:35], v46, s[2:3] offset:160
	s_nop 0
	global_load_dwordx4 v[24:27], v46, s[2:3] offset:144
	global_load_dwordx4 v[54:57], v46, s[2:3] offset:128
	s_waitcnt vmcnt(0)
	v_mul_f64 v[52:53], v[10:11], v[56:57]
	v_fma_f64 v[40:41], v[8:9], v[54:55], -v[52:53]
	buffer_store_dword v40, off, s[60:63], 0 offset:1592 ; 4-byte Folded Spill
	s_nop 0
	buffer_store_dword v41, off, s[60:63], 0 offset:1596 ; 4-byte Folded Spill
	v_mul_f64 v[8:9], v[8:9], v[56:57]
	buffer_store_dword v54, off, s[60:63], 0 offset:1952 ; 4-byte Folded Spill
	s_nop 0
	buffer_store_dword v55, off, s[60:63], 0 offset:1956 ; 4-byte Folded Spill
	buffer_store_dword v56, off, s[60:63], 0 offset:1960 ; 4-byte Folded Spill
	;; [unrolled: 1-line block ×3, first 2 shown]
	v_fma_f64 v[8:9], v[10:11], v[54:55], v[8:9]
	v_mul_f64 v[10:11], v[18:19], v[26:27]
	buffer_store_dword v8, off, s[60:63], 0 offset:1576 ; 4-byte Folded Spill
	s_nop 0
	buffer_store_dword v9, off, s[60:63], 0 offset:1580 ; 4-byte Folded Spill
	v_fma_f64 v[8:9], v[16:17], v[24:25], -v[10:11]
	buffer_store_dword v8, off, s[60:63], 0 offset:1624 ; 4-byte Folded Spill
	s_nop 0
	buffer_store_dword v9, off, s[60:63], 0 offset:1628 ; 4-byte Folded Spill
	v_mul_f64 v[16:17], v[16:17], v[26:27]
	buffer_store_dword v24, off, s[60:63], 0 offset:1920 ; 4-byte Folded Spill
	s_nop 0
	buffer_store_dword v25, off, s[60:63], 0 offset:1924 ; 4-byte Folded Spill
	buffer_store_dword v26, off, s[60:63], 0 offset:1928 ; 4-byte Folded Spill
	;; [unrolled: 1-line block ×3, first 2 shown]
	v_fma_f64 v[8:9], v[18:19], v[24:25], v[16:17]
	v_mul_f64 v[18:19], v[30:31], v[34:35]
	buffer_store_dword v8, off, s[60:63], 0 offset:1640 ; 4-byte Folded Spill
	s_nop 0
	buffer_store_dword v9, off, s[60:63], 0 offset:1644 ; 4-byte Folded Spill
	v_fma_f64 v[54:55], v[28:29], v[32:33], -v[18:19]
	v_mul_f64 v[28:29], v[28:29], v[34:35]
	buffer_store_dword v32, off, s[60:63], 0 offset:1936 ; 4-byte Folded Spill
	s_nop 0
	buffer_store_dword v33, off, s[60:63], 0 offset:1940 ; 4-byte Folded Spill
	buffer_store_dword v34, off, s[60:63], 0 offset:1944 ; 4-byte Folded Spill
	;; [unrolled: 1-line block ×3, first 2 shown]
	v_fma_f64 v[62:63], v[30:31], v[32:33], v[28:29]
	v_mul_f64 v[30:31], v[38:39], v[60:61]
	v_fma_f64 v[32:33], v[36:37], v[58:59], -v[30:31]
	v_mul_f64 v[36:37], v[36:37], v[60:61]
	buffer_store_dword v58, off, s[60:63], 0 offset:1968 ; 4-byte Folded Spill
	s_nop 0
	buffer_store_dword v59, off, s[60:63], 0 offset:1972 ; 4-byte Folded Spill
	buffer_store_dword v60, off, s[60:63], 0 offset:1976 ; 4-byte Folded Spill
	;; [unrolled: 1-line block ×3, first 2 shown]
	global_load_dwordx4 v[24:27], v46, s[2:3] offset:240
	global_load_dwordx4 v[16:19], v46, s[2:3] offset:224
	;; [unrolled: 1-line block ×4, first 2 shown]
	v_fma_f64 v[36:37], v[38:39], v[58:59], v[36:37]
	s_waitcnt vmcnt(0)
	v_mul_f64 v[38:39], v[2:3], v[30:31]
	v_fma_f64 v[38:39], v[0:1], v[28:29], -v[38:39]
	v_mul_f64 v[0:1], v[0:1], v[30:31]
	buffer_store_dword v28, off, s[60:63], 0 offset:2032 ; 4-byte Folded Spill
	s_nop 0
	buffer_store_dword v29, off, s[60:63], 0 offset:2036 ; 4-byte Folded Spill
	buffer_store_dword v30, off, s[60:63], 0 offset:2040 ; 4-byte Folded Spill
	;; [unrolled: 1-line block ×3, first 2 shown]
	v_fma_f64 v[28:29], v[2:3], v[28:29], v[0:1]
	v_mul_f64 v[0:1], v[6:7], v[10:11]
	v_mul_f64 v[2:3], v[20:21], v[26:27]
	v_fma_f64 v[30:31], v[4:5], v[8:9], -v[0:1]
	v_mul_f64 v[0:1], v[4:5], v[10:11]
	buffer_store_dword v8, off, s[60:63], 0 offset:1984 ; 4-byte Folded Spill
	s_nop 0
	buffer_store_dword v9, off, s[60:63], 0 offset:1988 ; 4-byte Folded Spill
	buffer_store_dword v10, off, s[60:63], 0 offset:1992 ; 4-byte Folded Spill
	;; [unrolled: 1-line block ×3, first 2 shown]
	v_fma_f64 v[60:61], v[6:7], v[8:9], v[0:1]
	v_mul_f64 v[0:1], v[14:15], v[18:19]
	v_mov_b32_e32 v8, v54
	v_mov_b32_e32 v9, v55
	v_fma_f64 v[10:11], v[12:13], v[16:17], -v[0:1]
	v_mul_f64 v[0:1], v[12:13], v[18:19]
	buffer_store_dword v16, off, s[60:63], 0 offset:2000 ; 4-byte Folded Spill
	s_nop 0
	buffer_store_dword v17, off, s[60:63], 0 offset:2004 ; 4-byte Folded Spill
	buffer_store_dword v18, off, s[60:63], 0 offset:2008 ; 4-byte Folded Spill
	;; [unrolled: 1-line block ×3, first 2 shown]
	v_add_f64 v[12:13], v[84:85], v[204:205]
	v_add_f64 v[12:13], v[12:13], v[202:203]
	;; [unrolled: 1-line block ×10, first 2 shown]
	v_fma_f64 v[16:17], v[14:15], v[16:17], v[0:1]
	v_add_f64 v[14:15], v[86:87], v[200:201]
	v_mul_f64 v[0:1], v[22:23], v[26:27]
	v_add_f64 v[12:13], v[12:13], v[238:239]
	v_add_f64 v[14:15], v[14:15], v[196:197]
	v_fma_f64 v[0:1], v[20:21], v[24:25], -v[0:1]
	buffer_store_dword v24, off, s[60:63], 0 offset:2016 ; 4-byte Folded Spill
	s_nop 0
	buffer_store_dword v25, off, s[60:63], 0 offset:2020 ; 4-byte Folded Spill
	buffer_store_dword v26, off, s[60:63], 0 offset:2024 ; 4-byte Folded Spill
	;; [unrolled: 1-line block ×3, first 2 shown]
	v_add_f64 v[12:13], v[12:13], v[248:249]
	v_add_f64 v[20:21], v[204:205], -v[146:147]
	v_add_f64 v[14:15], v[14:15], v[252:253]
	v_add_f64 v[12:13], v[12:13], v[156:157]
	v_mul_f64 v[94:95], v[20:21], s[36:37]
	v_mul_f64 v[102:103], v[20:21], s[48:49]
	;; [unrolled: 1-line block ×4, first 2 shown]
	v_add_f64 v[14:15], v[14:15], v[244:245]
	v_mul_f64 v[130:131], v[20:21], s[14:15]
	v_add_f64 v[12:13], v[12:13], v[154:155]
	v_add_f64 v[14:15], v[14:15], v[240:241]
	;; [unrolled: 1-line block ×6, first 2 shown]
	v_mul_f64 v[204:205], v[20:21], s[30:31]
	v_add_f64 v[14:15], v[14:15], v[224:225]
	v_add_f64 v[14:15], v[14:15], v[216:217]
	;; [unrolled: 1-line block ×5, first 2 shown]
	v_fma_f64 v[2:3], v[22:23], v[24:25], v[2:3]
	v_add_f64 v[14:15], v[14:15], v[242:243]
	v_add_f64 v[22:23], v[200:201], -v[140:141]
	v_add_f64 v[14:15], v[14:15], v[152:153]
	v_mul_f64 v[52:53], v[22:23], s[36:37]
	v_mul_f64 v[98:99], v[22:23], s[48:49]
	;; [unrolled: 1-line block ×7, first 2 shown]
	v_add_f64 v[14:15], v[14:15], v[148:149]
	v_mul_f64 v[22:23], v[22:23], s[40:41]
	v_fma_f64 v[92:93], v[12:13], s[26:27], -v[52:53]
	v_fma_f64 v[52:53], v[12:13], s[26:27], v[52:53]
	v_fma_f64 v[100:101], v[12:13], s[20:21], -v[98:99]
	v_fma_f64 v[98:99], v[12:13], s[20:21], v[98:99]
	;; [unrolled: 2-line block ×3, first 2 shown]
	v_add_f64 v[14:15], v[14:15], v[144:145]
	v_fma_f64 v[120:121], v[12:13], s[6:7], -v[114:115]
	v_fma_f64 v[114:115], v[12:13], s[6:7], v[114:115]
	v_fma_f64 v[128:129], v[12:13], s[12:13], -v[126:127]
	v_fma_f64 v[126:127], v[12:13], s[12:13], v[126:127]
	;; [unrolled: 2-line block ×3, first 2 shown]
	v_fma_f64 v[46:47], v[12:13], s[38:39], -v[22:23]
	v_add_f64 v[6:7], v[14:15], v[140:141]
	v_add_f64 v[14:15], v[200:201], v[140:141]
	v_mul_f64 v[140:141], v[20:21], s[22:23]
	v_mul_f64 v[20:21], v[20:21], s[40:41]
	v_fma_f64 v[200:201], v[12:13], s[28:29], -v[146:147]
	v_fma_f64 v[146:147], v[12:13], s[28:29], v[146:147]
	v_fma_f64 v[12:13], v[12:13], s[38:39], v[22:23]
	v_add_f64 v[22:23], v[196:197], v[144:145]
	v_add_f64 v[92:93], v[84:85], v[92:93]
	v_fma_f64 v[96:97], v[14:15], s[26:27], v[94:95]
	v_fma_f64 v[94:95], v[14:15], s[26:27], -v[94:95]
	v_fma_f64 v[104:105], v[14:15], s[20:21], v[102:103]
	v_fma_f64 v[102:103], v[14:15], s[20:21], -v[102:103]
	;; [unrolled: 2-line block ×8, first 2 shown]
	v_add_f64 v[96:97], v[86:87], v[96:97]
	v_add_f64 v[94:95], v[86:87], v[94:95]
	;; [unrolled: 1-line block ×16, first 2 shown]
	v_add_f64 v[86:87], v[196:197], -v[144:145]
	v_add_f64 v[20:21], v[202:203], v[150:151]
	v_add_f64 v[52:53], v[84:85], v[52:53]
	;; [unrolled: 1-line block ×7, first 2 shown]
	v_mul_f64 v[144:145], v[86:87], s[48:49]
	v_add_f64 v[114:115], v[84:85], v[114:115]
	v_add_f64 v[128:129], v[84:85], v[128:129]
	;; [unrolled: 1-line block ×9, first 2 shown]
	v_add_f64 v[84:85], v[202:203], -v[150:151]
	v_fma_f64 v[150:151], v[20:21], s[20:21], -v[144:145]
	v_fma_f64 v[144:145], v[20:21], s[20:21], v[144:145]
	v_add_f64 v[202:203], v[224:225], -v[226:227]
	buffer_store_dword v4, off, s[60:63], 0 offset:1496 ; 4-byte Folded Spill
	s_nop 0
	buffer_store_dword v5, off, s[60:63], 0 offset:1500 ; 4-byte Folded Spill
	buffer_store_dword v6, off, s[60:63], 0 offset:1504 ; 4-byte Folded Spill
	;; [unrolled: 1-line block ×3, first 2 shown]
	v_mov_b32_e32 v6, v32
	v_mov_b32_e32 v7, v33
	;; [unrolled: 1-line block ×4, first 2 shown]
	v_add_f64 v[92:93], v[150:151], v[92:93]
	v_mul_f64 v[150:151], v[84:85], s[48:49]
	v_add_f64 v[52:53], v[144:145], v[52:53]
	v_fma_f64 v[144:145], v[22:23], s[20:21], -v[150:151]
	v_fma_f64 v[196:197], v[22:23], s[20:21], v[150:151]
	v_add_f64 v[94:95], v[144:145], v[94:95]
	v_mul_f64 v[144:145], v[86:87], s[44:45]
	v_add_f64 v[96:97], v[196:197], v[96:97]
	v_fma_f64 v[150:151], v[20:21], s[6:7], -v[144:145]
	v_fma_f64 v[144:145], v[20:21], s[6:7], v[144:145]
	;; [unrolled: 5-line block ×11, first 2 shown]
	v_add_f64 v[140:141], v[144:145], v[140:141]
	v_mul_f64 v[144:145], v[86:87], s[24:25]
	v_add_f64 v[142:143], v[196:197], v[142:143]
	v_mul_f64 v[196:197], v[84:85], s[24:25]
	v_mul_f64 v[86:87], v[86:87], s[46:47]
	;; [unrolled: 1-line block ×3, first 2 shown]
	v_fma_f64 v[150:151], v[20:21], s[16:17], -v[144:145]
	v_fma_f64 v[144:145], v[20:21], s[16:17], v[144:145]
	v_add_f64 v[150:151], v[150:151], v[200:201]
	v_fma_f64 v[200:201], v[22:23], s[16:17], v[196:197]
	v_add_f64 v[144:145], v[144:145], v[146:147]
	v_fma_f64 v[146:147], v[22:23], s[16:17], -v[196:197]
	v_fma_f64 v[196:197], v[20:21], s[26:27], -v[86:87]
	v_fma_f64 v[20:21], v[20:21], s[26:27], v[86:87]
	v_add_f64 v[86:87], v[252:253], -v[148:149]
	v_add_f64 v[200:201], v[200:201], v[206:207]
	v_add_f64 v[146:147], v[146:147], v[204:205]
	;; [unrolled: 1-line block ×4, first 2 shown]
	v_fma_f64 v[20:21], v[22:23], s[26:27], -v[84:85]
	v_fma_f64 v[196:197], v[22:23], s[26:27], v[84:85]
	v_add_f64 v[22:23], v[252:253], v[148:149]
	v_mul_f64 v[148:149], v[86:87], s[50:51]
	v_add_f64 v[84:85], v[254:255], -v[154:155]
	v_add_f64 v[14:15], v[20:21], v[14:15]
	v_add_f64 v[20:21], v[254:255], v[154:155]
	;; [unrolled: 1-line block ×3, first 2 shown]
	v_fma_f64 v[154:155], v[20:21], s[16:17], -v[148:149]
	v_fma_f64 v[148:149], v[20:21], s[16:17], v[148:149]
	v_add_f64 v[92:93], v[154:155], v[92:93]
	v_mul_f64 v[154:155], v[84:85], s[50:51]
	v_add_f64 v[52:53], v[148:149], v[52:53]
	v_fma_f64 v[148:149], v[22:23], s[16:17], -v[154:155]
	v_fma_f64 v[196:197], v[22:23], s[16:17], v[154:155]
	v_add_f64 v[94:95], v[148:149], v[94:95]
	v_mul_f64 v[148:149], v[86:87], s[22:23]
	v_add_f64 v[96:97], v[196:197], v[96:97]
	;; [unrolled: 5-line block ×11, first 2 shown]
	v_fma_f64 v[148:149], v[22:23], s[26:27], -v[154:155]
	v_fma_f64 v[196:197], v[22:23], s[26:27], v[154:155]
	v_add_f64 v[140:141], v[148:149], v[140:141]
	v_mul_f64 v[148:149], v[86:87], s[44:45]
	v_mul_f64 v[86:87], v[86:87], s[30:31]
	v_add_f64 v[142:143], v[196:197], v[142:143]
	v_fma_f64 v[154:155], v[20:21], s[6:7], -v[148:149]
	v_fma_f64 v[148:149], v[20:21], s[6:7], v[148:149]
	v_add_f64 v[150:151], v[154:155], v[150:151]
	v_mul_f64 v[154:155], v[84:85], s[44:45]
	v_add_f64 v[144:145], v[148:149], v[144:145]
	v_mul_f64 v[84:85], v[84:85], s[30:31]
	v_fma_f64 v[148:149], v[22:23], s[6:7], -v[154:155]
	v_fma_f64 v[196:197], v[22:23], s[6:7], v[154:155]
	v_add_f64 v[146:147], v[148:149], v[146:147]
	v_fma_f64 v[148:149], v[20:21], s[28:29], -v[86:87]
	v_fma_f64 v[20:21], v[20:21], s[28:29], v[86:87]
	v_add_f64 v[86:87], v[244:245], -v[152:153]
	v_add_f64 v[196:197], v[196:197], v[200:201]
	v_add_f64 v[200:201], v[228:229], -v[230:231]
	v_add_f64 v[46:47], v[148:149], v[46:47]
	v_fma_f64 v[148:149], v[22:23], s[28:29], v[84:85]
	v_add_f64 v[12:13], v[20:21], v[12:13]
	v_fma_f64 v[20:21], v[22:23], s[28:29], -v[84:85]
	v_add_f64 v[22:23], v[244:245], v[152:153]
	v_add_f64 v[84:85], v[250:251], -v[156:157]
	v_add_f64 v[40:41], v[148:149], v[40:41]
	v_mul_f64 v[148:149], v[86:87], s[44:45]
	v_add_f64 v[14:15], v[20:21], v[14:15]
	v_add_f64 v[20:21], v[250:251], v[156:157]
	v_fma_f64 v[152:153], v[20:21], s[6:7], -v[148:149]
	v_fma_f64 v[148:149], v[20:21], s[6:7], v[148:149]
	v_add_f64 v[92:93], v[152:153], v[92:93]
	v_mul_f64 v[152:153], v[84:85], s[44:45]
	v_add_f64 v[52:53], v[148:149], v[52:53]
	v_fma_f64 v[148:149], v[22:23], s[6:7], -v[152:153]
	v_fma_f64 v[154:155], v[22:23], s[6:7], v[152:153]
	v_add_f64 v[94:95], v[148:149], v[94:95]
	v_mul_f64 v[148:149], v[86:87], s[40:41]
	;; [unrolled: 5-line block ×12, first 2 shown]
	v_mul_f64 v[86:87], v[86:87], s[42:43]
	v_add_f64 v[142:143], v[154:155], v[142:143]
	v_fma_f64 v[152:153], v[20:21], s[18:19], -v[148:149]
	v_fma_f64 v[148:149], v[20:21], s[18:19], v[148:149]
	v_add_f64 v[150:151], v[152:153], v[150:151]
	v_mul_f64 v[152:153], v[84:85], s[56:57]
	v_add_f64 v[144:145], v[148:149], v[144:145]
	v_mul_f64 v[84:85], v[84:85], s[42:43]
	v_fma_f64 v[148:149], v[22:23], s[18:19], -v[152:153]
	v_fma_f64 v[154:155], v[22:23], s[18:19], v[152:153]
	v_add_f64 v[146:147], v[148:149], v[146:147]
	v_fma_f64 v[148:149], v[20:21], s[20:21], -v[86:87]
	v_fma_f64 v[20:21], v[20:21], s[20:21], v[86:87]
	v_add_f64 v[86:87], v[240:241], -v[242:243]
	v_add_f64 v[154:155], v[154:155], v[196:197]
	v_add_f64 v[196:197], v[224:225], v[226:227]
	;; [unrolled: 1-line block ×3, first 2 shown]
	v_fma_f64 v[148:149], v[22:23], s[20:21], v[84:85]
	v_add_f64 v[12:13], v[20:21], v[12:13]
	v_fma_f64 v[20:21], v[22:23], s[20:21], -v[84:85]
	v_add_f64 v[84:85], v[246:247], -v[248:249]
	v_add_f64 v[22:23], v[240:241], v[242:243]
	v_add_f64 v[40:41], v[148:149], v[40:41]
	v_mul_f64 v[148:149], v[86:87], s[14:15]
	v_add_f64 v[14:15], v[20:21], v[14:15]
	v_add_f64 v[20:21], v[246:247], v[248:249]
	v_fma_f64 v[152:153], v[20:21], s[12:13], -v[148:149]
	v_fma_f64 v[148:149], v[20:21], s[12:13], v[148:149]
	v_add_f64 v[92:93], v[152:153], v[92:93]
	v_mul_f64 v[152:153], v[84:85], s[14:15]
	v_add_f64 v[52:53], v[148:149], v[52:53]
	v_fma_f64 v[148:149], v[22:23], s[12:13], -v[152:153]
	v_fma_f64 v[156:157], v[22:23], s[12:13], v[152:153]
	v_add_f64 v[94:95], v[148:149], v[94:95]
	v_mul_f64 v[148:149], v[86:87], s[54:55]
	;; [unrolled: 5-line block ×12, first 2 shown]
	v_mul_f64 v[86:87], v[86:87], s[22:23]
	v_add_f64 v[142:143], v[156:157], v[142:143]
	v_fma_f64 v[152:153], v[20:21], s[26:27], -v[148:149]
	v_fma_f64 v[148:149], v[20:21], s[26:27], v[148:149]
	v_add_f64 v[150:151], v[152:153], v[150:151]
	v_mul_f64 v[152:153], v[84:85], s[36:37]
	v_add_f64 v[144:145], v[148:149], v[144:145]
	v_mul_f64 v[84:85], v[84:85], s[22:23]
	v_fma_f64 v[148:149], v[22:23], s[26:27], -v[152:153]
	v_fma_f64 v[156:157], v[22:23], s[26:27], v[152:153]
	v_add_f64 v[146:147], v[148:149], v[146:147]
	v_fma_f64 v[148:149], v[20:21], s[18:19], -v[86:87]
	v_fma_f64 v[20:21], v[20:21], s[18:19], v[86:87]
	v_add_f64 v[86:87], v[232:233], -v[234:235]
	v_add_f64 v[154:155], v[156:157], v[154:155]
	v_add_f64 v[46:47], v[148:149], v[46:47]
	v_fma_f64 v[148:149], v[22:23], s[18:19], v[84:85]
	v_add_f64 v[12:13], v[20:21], v[12:13]
	v_fma_f64 v[20:21], v[22:23], s[18:19], -v[84:85]
	v_add_f64 v[84:85], v[236:237], -v[238:239]
	v_add_f64 v[22:23], v[232:233], v[234:235]
	v_add_f64 v[40:41], v[148:149], v[40:41]
	v_mul_f64 v[148:149], v[86:87], s[22:23]
	v_add_f64 v[14:15], v[20:21], v[14:15]
	v_add_f64 v[20:21], v[236:237], v[238:239]
	v_fma_f64 v[152:153], v[20:21], s[18:19], -v[148:149]
	v_fma_f64 v[148:149], v[20:21], s[18:19], v[148:149]
	v_add_f64 v[92:93], v[152:153], v[92:93]
	v_mul_f64 v[152:153], v[84:85], s[22:23]
	v_add_f64 v[52:53], v[148:149], v[52:53]
	v_fma_f64 v[148:149], v[22:23], s[18:19], -v[152:153]
	v_fma_f64 v[156:157], v[22:23], s[18:19], v[152:153]
	v_add_f64 v[94:95], v[148:149], v[94:95]
	v_mul_f64 v[148:149], v[86:87], s[52:53]
	;; [unrolled: 5-line block ×7, first 2 shown]
	v_fma_f64 v[156:157], v[22:23], s[28:29], v[152:153]
	v_add_f64 v[124:125], v[156:157], v[124:125]
	v_add_f64 v[156:157], v[106:107], v[114:115]
	v_fma_f64 v[106:107], v[22:23], s[28:29], -v[152:153]
	v_add_f64 v[122:123], v[106:107], v[122:123]
	v_mul_f64 v[106:107], v[86:87], s[34:35]
	v_fma_f64 v[114:115], v[20:21], s[6:7], -v[106:107]
	v_fma_f64 v[106:107], v[20:21], s[6:7], v[106:107]
	v_add_f64 v[128:129], v[114:115], v[128:129]
	v_mul_f64 v[114:115], v[84:85], s[34:35]
	v_add_f64 v[126:127], v[106:107], v[126:127]
	v_fma_f64 v[106:107], v[22:23], s[6:7], -v[114:115]
	v_fma_f64 v[152:153], v[22:23], s[6:7], v[114:115]
	v_add_f64 v[130:131], v[106:107], v[130:131]
	v_mul_f64 v[106:107], v[86:87], s[48:49]
	v_add_f64 v[132:133], v[152:153], v[132:133]
	;; [unrolled: 5-line block ×3, first 2 shown]
	v_fma_f64 v[106:107], v[22:23], s[20:21], -v[114:115]
	v_fma_f64 v[152:153], v[22:23], s[20:21], v[114:115]
	v_add_f64 v[140:141], v[106:107], v[140:141]
	v_mul_f64 v[106:107], v[86:87], s[40:41]
	v_mul_f64 v[86:87], v[86:87], s[24:25]
	v_add_f64 v[142:143], v[152:153], v[142:143]
	v_fma_f64 v[114:115], v[20:21], s[38:39], -v[106:107]
	v_fma_f64 v[106:107], v[20:21], s[38:39], v[106:107]
	v_add_f64 v[150:151], v[114:115], v[150:151]
	v_mul_f64 v[114:115], v[84:85], s[40:41]
	v_add_f64 v[144:145], v[106:107], v[144:145]
	v_mul_f64 v[84:85], v[84:85], s[24:25]
	v_fma_f64 v[106:107], v[22:23], s[38:39], -v[114:115]
	v_fma_f64 v[152:153], v[22:23], s[38:39], v[114:115]
	v_add_f64 v[146:147], v[106:107], v[146:147]
	v_fma_f64 v[106:107], v[20:21], s[16:17], -v[86:87]
	v_fma_f64 v[20:21], v[20:21], s[16:17], v[86:87]
	v_add_f64 v[152:153], v[152:153], v[154:155]
	v_add_f64 v[154:155], v[228:229], v[230:231]
	;; [unrolled: 1-line block ×4, first 2 shown]
	v_fma_f64 v[12:13], v[22:23], s[16:17], -v[84:85]
	v_fma_f64 v[106:107], v[22:23], s[16:17], v[84:85]
	v_add_f64 v[84:85], v[12:13], v[14:15]
	v_mul_f64 v[12:13], v[202:203], s[30:31]
	v_add_f64 v[40:41], v[106:107], v[40:41]
	v_fma_f64 v[14:15], v[154:155], s[28:29], -v[12:13]
	v_fma_f64 v[12:13], v[154:155], s[28:29], v[12:13]
	v_add_f64 v[92:93], v[14:15], v[92:93]
	v_mul_f64 v[14:15], v[200:201], s[30:31]
	v_add_f64 v[52:53], v[12:13], v[52:53]
	;; [unrolled: 5-line block ×5, first 2 shown]
	v_mul_f64 v[102:103], v[200:201], s[42:43]
	v_fma_f64 v[14:15], v[154:155], s[6:7], -v[12:13]
	v_fma_f64 v[12:13], v[154:155], s[6:7], v[12:13]
	v_add_f64 v[104:105], v[14:15], v[108:109]
	v_mul_f64 v[14:15], v[200:201], s[44:45]
	v_add_f64 v[108:109], v[12:13], v[148:149]
	v_fma_f64 v[12:13], v[196:197], s[6:7], -v[14:15]
	v_fma_f64 v[20:21], v[196:197], s[6:7], v[14:15]
	v_add_f64 v[110:111], v[12:13], v[110:111]
	v_mul_f64 v[12:13], v[202:203], s[56:57]
	v_add_f64 v[106:107], v[20:21], v[112:113]
	;; [unrolled: 5-line block ×3, first 2 shown]
	v_add_f64 v[156:157], v[216:217], -v[218:219]
	v_fma_f64 v[20:21], v[196:197], s[18:19], v[14:15]
	v_fma_f64 v[14:15], v[196:197], s[18:19], -v[14:15]
	v_add_f64 v[114:115], v[20:21], v[124:125]
	v_mul_f64 v[20:21], v[202:203], s[36:37]
	v_add_f64 v[14:15], v[14:15], v[122:123]
	v_fma_f64 v[22:23], v[154:155], s[26:27], -v[20:21]
	v_fma_f64 v[20:21], v[154:155], s[26:27], v[20:21]
	v_add_f64 v[120:121], v[22:23], v[128:129]
	v_mul_f64 v[22:23], v[200:201], s[36:37]
	v_add_f64 v[124:125], v[20:21], v[126:127]
	v_fma_f64 v[20:21], v[196:197], s[26:27], -v[22:23]
	v_fma_f64 v[94:95], v[196:197], s[26:27], v[22:23]
	v_add_f64 v[126:127], v[20:21], v[130:131]
	v_mul_f64 v[20:21], v[202:203], s[40:41]
	v_add_f64 v[122:123], v[94:95], v[132:133]
	v_fma_f64 v[22:23], v[154:155], s[38:39], -v[20:21]
	v_fma_f64 v[20:21], v[154:155], s[38:39], v[20:21]
	v_add_f64 v[128:129], v[22:23], v[138:139]
	v_mul_f64 v[22:23], v[200:201], s[40:41]
	v_add_f64 v[132:133], v[20:21], v[134:135]
	v_fma_f64 v[94:95], v[196:197], s[38:39], v[22:23]
	v_fma_f64 v[20:21], v[196:197], s[38:39], -v[22:23]
	v_fma_f64 v[22:23], v[196:197], s[20:21], v[102:103]
	v_add_f64 v[130:131], v[94:95], v[142:143]
	v_mul_f64 v[94:95], v[202:203], s[42:43]
	v_add_f64 v[134:135], v[20:21], v[140:141]
	v_add_f64 v[22:23], v[22:23], v[152:153]
	;; [unrolled: 1-line block ×3, first 2 shown]
	v_fma_f64 v[20:21], v[154:155], s[20:21], -v[94:95]
	v_fma_f64 v[94:95], v[154:155], s[20:21], v[94:95]
	v_add_f64 v[20:21], v[20:21], v[150:151]
	v_add_f64 v[140:141], v[94:95], v[144:145]
	v_fma_f64 v[94:95], v[196:197], s[20:21], -v[102:103]
	v_add_f64 v[150:151], v[216:217], v[218:219]
	v_add_f64 v[142:143], v[94:95], v[146:147]
	v_mul_f64 v[94:95], v[202:203], s[14:15]
	v_fma_f64 v[102:103], v[154:155], s[12:13], -v[94:95]
	v_add_f64 v[144:145], v[102:103], v[46:47]
	v_mul_f64 v[46:47], v[200:201], s[14:15]
	v_fma_f64 v[102:103], v[196:197], s[12:13], v[46:47]
	v_add_f64 v[146:147], v[102:103], v[40:41]
	v_fma_f64 v[40:41], v[154:155], s[12:13], v[94:95]
	v_add_f64 v[154:155], v[220:221], -v[222:223]
	v_mov_b32_e32 v103, v37
	v_mov_b32_e32 v102, v36
	v_add_f64 v[148:149], v[40:41], v[86:87]
	v_fma_f64 v[40:41], v[196:197], s[12:13], -v[46:47]
	v_add_f64 v[138:139], v[40:41], v[84:85]
	v_mul_f64 v[40:41], v[156:157], s[40:41]
	v_fma_f64 v[46:47], v[152:153], s[38:39], -v[40:41]
	v_fma_f64 v[40:41], v[152:153], s[38:39], v[40:41]
	v_add_f64 v[24:25], v[46:47], v[92:93]
	v_mul_f64 v[46:47], v[154:155], s[40:41]
	v_mov_b32_e32 v93, v5
	v_mov_b32_e32 v92, v4
	v_fma_f64 v[84:85], v[150:151], s[38:39], v[46:47]
	v_add_f64 v[26:27], v[84:85], v[96:97]
	buffer_store_dword v24, off, s[60:63], 0 offset:1720 ; 4-byte Folded Spill
	s_nop 0
	buffer_store_dword v25, off, s[60:63], 0 offset:1724 ; 4-byte Folded Spill
	buffer_store_dword v26, off, s[60:63], 0 offset:1728 ; 4-byte Folded Spill
	;; [unrolled: 1-line block ×3, first 2 shown]
	v_add_f64 v[24:25], v[40:41], v[52:53]
	v_fma_f64 v[40:41], v[150:151], s[38:39], -v[46:47]
	v_add_f64 v[26:27], v[40:41], v[204:205]
	v_mul_f64 v[40:41], v[156:157], s[46:47]
	buffer_store_dword v24, off, s[60:63], 0 offset:1704 ; 4-byte Folded Spill
	s_nop 0
	buffer_store_dword v25, off, s[60:63], 0 offset:1708 ; 4-byte Folded Spill
	buffer_store_dword v26, off, s[60:63], 0 offset:1712 ; 4-byte Folded Spill
	;; [unrolled: 1-line block ×3, first 2 shown]
	v_fma_f64 v[46:47], v[152:153], s[26:27], -v[40:41]
	v_fma_f64 v[40:41], v[152:153], s[26:27], v[40:41]
	v_add_f64 v[24:25], v[46:47], v[100:101]
	v_mul_f64 v[46:47], v[154:155], s[46:47]
	v_mov_b32_e32 v101, v9
	v_mov_b32_e32 v100, v8
	v_fma_f64 v[52:53], v[150:151], s[26:27], v[46:47]
	v_add_f64 v[26:27], v[52:53], v[206:207]
	buffer_store_dword v24, off, s[60:63], 0 offset:1752 ; 4-byte Folded Spill
	s_nop 0
	buffer_store_dword v25, off, s[60:63], 0 offset:1756 ; 4-byte Folded Spill
	buffer_store_dword v26, off, s[60:63], 0 offset:1760 ; 4-byte Folded Spill
	;; [unrolled: 1-line block ×3, first 2 shown]
	v_add_f64 v[24:25], v[40:41], v[98:99]
	v_fma_f64 v[40:41], v[150:151], s[26:27], -v[46:47]
	v_mov_b32_e32 v99, v63
	v_mov_b32_e32 v98, v62
	v_add_f64 v[26:27], v[40:41], v[224:225]
	v_mul_f64 v[40:41], v[156:157], s[30:31]
	buffer_store_dword v24, off, s[60:63], 0 offset:1736 ; 4-byte Folded Spill
	s_nop 0
	buffer_store_dword v25, off, s[60:63], 0 offset:1740 ; 4-byte Folded Spill
	buffer_store_dword v26, off, s[60:63], 0 offset:1744 ; 4-byte Folded Spill
	;; [unrolled: 1-line block ×3, first 2 shown]
	v_fma_f64 v[46:47], v[152:153], s[28:29], -v[40:41]
	v_fma_f64 v[40:41], v[152:153], s[28:29], v[40:41]
	v_add_f64 v[104:105], v[46:47], v[104:105]
	v_mul_f64 v[46:47], v[154:155], s[30:31]
	v_add_f64 v[108:109], v[40:41], v[108:109]
	v_fma_f64 v[40:41], v[150:151], s[28:29], -v[46:47]
	v_fma_f64 v[52:53], v[150:151], s[28:29], v[46:47]
	v_add_f64 v[110:111], v[40:41], v[110:111]
	v_mul_f64 v[40:41], v[156:157], s[42:43]
	v_add_f64 v[106:107], v[52:53], v[106:107]
	;; [unrolled: 5-line block ×11, first 2 shown]
	v_fma_f64 v[52:53], v[150:151], s[6:7], v[46:47]
	v_fma_f64 v[40:41], v[150:151], s[6:7], -v[46:47]
	v_add_f64 v[46:47], v[90:91], v[208:209]
	v_add_f64 v[146:147], v[52:53], v[146:147]
	;; [unrolled: 1-line block ×5, first 2 shown]
	v_add_f64 v[52:53], v[210:211], -v[214:215]
	v_add_f64 v[40:41], v[40:41], v[136:137]
	v_add_f64 v[46:47], v[46:47], v[190:191]
	v_mul_f64 v[196:197], v[52:53], s[36:37]
	v_mul_f64 v[206:207], v[52:53], s[48:49]
	;; [unrolled: 1-line block ×6, first 2 shown]
	v_add_f64 v[40:41], v[40:41], v[194:195]
	v_add_f64 v[46:47], v[46:47], v[182:183]
	v_mul_f64 v[248:249], v[52:53], s[30:31]
	v_mul_f64 v[52:53], v[52:53], s[40:41]
	v_add_f64 v[40:41], v[40:41], v[186:187]
	v_add_f64 v[46:47], v[46:47], v[176:177]
	;; [unrolled: 1-line block ×25, first 2 shown]
	v_add_f64 v[42:43], v[208:209], -v[42:43]
	v_add_f64 v[152:153], v[40:41], v[214:215]
	v_add_f64 v[40:41], v[210:211], v[214:215]
	v_fma_f64 v[254:255], v[46:47], s[38:39], v[52:53]
	v_mul_f64 v[138:139], v[42:43], s[36:37]
	v_mul_f64 v[202:203], v[42:43], s[48:49]
	;; [unrolled: 1-line block ×8, first 2 shown]
	v_fma_f64 v[156:157], v[40:41], s[26:27], -v[138:139]
	v_fma_f64 v[138:139], v[40:41], s[26:27], v[138:139]
	v_fma_f64 v[204:205], v[40:41], s[20:21], -v[202:203]
	v_fma_f64 v[202:203], v[40:41], s[20:21], v[202:203]
	;; [unrolled: 2-line block ×8, first 2 shown]
	v_fma_f64 v[42:43], v[46:47], s[38:39], -v[52:53]
	v_add_f64 v[52:53], v[198:199], v[44:45]
	v_add_f64 v[44:45], v[198:199], -v[44:45]
	v_add_f64 v[156:157], v[88:89], v[156:157]
	v_fma_f64 v[200:201], v[46:47], s[26:27], v[196:197]
	v_add_f64 v[138:139], v[88:89], v[138:139]
	v_fma_f64 v[196:197], v[46:47], s[26:27], -v[196:197]
	v_add_f64 v[204:205], v[88:89], v[204:205]
	v_fma_f64 v[208:209], v[46:47], s[20:21], v[206:207]
	v_add_f64 v[202:203], v[88:89], v[202:203]
	v_fma_f64 v[206:207], v[46:47], s[20:21], -v[206:207]
	;; [unrolled: 4-line block ×7, first 2 shown]
	v_add_f64 v[252:253], v[88:89], v[252:253]
	v_add_f64 v[40:41], v[88:89], v[40:41]
	;; [unrolled: 1-line block ×3, first 2 shown]
	v_add_f64 v[50:51], v[136:137], -v[50:51]
	v_mul_f64 v[88:89], v[44:45], s[48:49]
	v_add_f64 v[200:201], v[90:91], v[200:201]
	v_add_f64 v[196:197], v[90:91], v[196:197]
	v_add_f64 v[208:209], v[90:91], v[208:209]
	v_add_f64 v[206:207], v[90:91], v[206:207]
	v_add_f64 v[218:219], v[90:91], v[218:219]
	v_add_f64 v[216:217], v[90:91], v[216:217]
	v_add_f64 v[226:227], v[90:91], v[226:227]
	v_add_f64 v[224:225], v[90:91], v[224:225]
	v_add_f64 v[234:235], v[90:91], v[234:235]
	v_add_f64 v[232:233], v[90:91], v[232:233]
	v_add_f64 v[242:243], v[90:91], v[242:243]
	v_add_f64 v[240:241], v[90:91], v[240:241]
	v_add_f64 v[250:251], v[90:91], v[250:251]
	v_add_f64 v[248:249], v[90:91], v[248:249]
	v_add_f64 v[254:255], v[90:91], v[254:255]
	v_add_f64 v[42:43], v[90:91], v[42:43]
	v_fma_f64 v[90:91], v[46:47], s[20:21], -v[88:89]
	v_mul_f64 v[136:137], v[50:51], s[48:49]
	v_fma_f64 v[88:89], v[46:47], s[20:21], v[88:89]
	v_mul_f64 v[198:199], v[50:51], s[44:45]
	v_add_f64 v[90:91], v[90:91], v[156:157]
	v_fma_f64 v[156:157], v[52:53], s[20:21], v[136:137]
	v_add_f64 v[88:89], v[88:89], v[138:139]
	v_fma_f64 v[136:137], v[52:53], s[20:21], -v[136:137]
	v_mul_f64 v[138:139], v[44:45], s[44:45]
	v_add_f64 v[156:157], v[156:157], v[200:201]
	v_fma_f64 v[200:201], v[52:53], s[6:7], v[198:199]
	v_add_f64 v[136:137], v[136:137], v[196:197]
	v_fma_f64 v[196:197], v[46:47], s[6:7], -v[138:139]
	v_fma_f64 v[138:139], v[46:47], s[6:7], v[138:139]
	v_fma_f64 v[198:199], v[52:53], s[6:7], -v[198:199]
	v_add_f64 v[200:201], v[200:201], v[208:209]
	v_add_f64 v[196:197], v[196:197], v[204:205]
	;; [unrolled: 1-line block ×3, first 2 shown]
	v_mul_f64 v[202:203], v[44:45], s[22:23]
	v_add_f64 v[198:199], v[198:199], v[206:207]
	v_mul_f64 v[206:207], v[50:51], s[22:23]
	v_fma_f64 v[204:205], v[46:47], s[18:19], -v[202:203]
	v_fma_f64 v[202:203], v[46:47], s[18:19], v[202:203]
	v_fma_f64 v[208:209], v[52:53], s[18:19], v[206:207]
	v_fma_f64 v[206:207], v[52:53], s[18:19], -v[206:207]
	v_add_f64 v[204:205], v[204:205], v[214:215]
	v_add_f64 v[202:203], v[202:203], v[210:211]
	v_mul_f64 v[210:211], v[44:45], s[40:41]
	v_add_f64 v[206:207], v[206:207], v[216:217]
	v_mul_f64 v[216:217], v[50:51], s[40:41]
	v_add_f64 v[208:209], v[208:209], v[218:219]
	v_fma_f64 v[214:215], v[46:47], s[38:39], -v[210:211]
	v_fma_f64 v[210:211], v[46:47], s[38:39], v[210:211]
	v_fma_f64 v[218:219], v[52:53], s[38:39], v[216:217]
	v_fma_f64 v[216:217], v[52:53], s[38:39], -v[216:217]
	v_add_f64 v[214:215], v[214:215], v[222:223]
	v_add_f64 v[210:211], v[210:211], v[220:221]
	v_mul_f64 v[220:221], v[44:45], s[54:55]
	v_add_f64 v[216:217], v[216:217], v[224:225]
	v_mul_f64 v[224:225], v[50:51], s[54:55]
	v_add_f64 v[218:219], v[218:219], v[226:227]
	v_fma_f64 v[222:223], v[46:47], s[28:29], -v[220:221]
	v_fma_f64 v[220:221], v[46:47], s[28:29], v[220:221]
	v_fma_f64 v[226:227], v[52:53], s[28:29], v[224:225]
	v_fma_f64 v[224:225], v[52:53], s[28:29], -v[224:225]
	v_add_f64 v[222:223], v[222:223], v[230:231]
	v_add_f64 v[220:221], v[220:221], v[228:229]
	v_mul_f64 v[228:229], v[44:45], s[52:53]
	v_add_f64 v[224:225], v[224:225], v[232:233]
	v_mul_f64 v[232:233], v[50:51], s[52:53]
	v_add_f64 v[226:227], v[226:227], v[234:235]
	v_fma_f64 v[230:231], v[46:47], s[12:13], -v[228:229]
	v_fma_f64 v[228:229], v[46:47], s[12:13], v[228:229]
	v_fma_f64 v[234:235], v[52:53], s[12:13], v[232:233]
	v_fma_f64 v[232:233], v[52:53], s[12:13], -v[232:233]
	v_add_f64 v[230:231], v[230:231], v[238:239]
	v_add_f64 v[228:229], v[228:229], v[236:237]
	v_mul_f64 v[236:237], v[44:45], s[24:25]
	v_mul_f64 v[44:45], v[44:45], s[46:47]
	v_add_f64 v[232:233], v[232:233], v[240:241]
	v_mul_f64 v[240:241], v[50:51], s[24:25]
	v_mul_f64 v[50:51], v[50:51], s[46:47]
	v_add_f64 v[234:235], v[234:235], v[242:243]
	v_fma_f64 v[238:239], v[46:47], s[16:17], -v[236:237]
	v_fma_f64 v[236:237], v[46:47], s[16:17], v[236:237]
	v_fma_f64 v[242:243], v[52:53], s[16:17], v[240:241]
	v_fma_f64 v[240:241], v[52:53], s[16:17], -v[240:241]
	v_add_f64 v[238:239], v[238:239], v[246:247]
	v_add_f64 v[236:237], v[236:237], v[244:245]
	v_fma_f64 v[244:245], v[46:47], s[26:27], -v[44:45]
	v_fma_f64 v[44:45], v[46:47], s[26:27], v[44:45]
	v_fma_f64 v[246:247], v[52:53], s[26:27], v[50:51]
	v_add_f64 v[46:47], v[190:191], v[118:119]
	v_add_f64 v[240:241], v[240:241], v[248:249]
	;; [unrolled: 1-line block ×5, first 2 shown]
	v_fma_f64 v[44:45], v[52:53], s[26:27], -v[50:51]
	v_add_f64 v[50:51], v[190:191], -v[118:119]
	v_add_f64 v[246:247], v[246:247], v[254:255]
	v_add_f64 v[42:43], v[44:45], v[42:43]
	;; [unrolled: 1-line block ×3, first 2 shown]
	v_mul_f64 v[52:53], v[50:51], s[50:51]
	v_add_f64 v[48:49], v[194:195], -v[48:49]
	v_fma_f64 v[118:119], v[44:45], s[16:17], -v[52:53]
	v_fma_f64 v[52:53], v[44:45], s[16:17], v[52:53]
	v_add_f64 v[90:91], v[118:119], v[90:91]
	v_mul_f64 v[118:119], v[48:49], s[50:51]
	v_add_f64 v[52:53], v[52:53], v[88:89]
	v_fma_f64 v[190:191], v[46:47], s[16:17], v[118:119]
	v_fma_f64 v[88:89], v[46:47], s[16:17], -v[118:119]
	v_mul_f64 v[118:119], v[50:51], s[22:23]
	v_add_f64 v[156:157], v[190:191], v[156:157]
	v_add_f64 v[88:89], v[88:89], v[136:137]
	v_fma_f64 v[136:137], v[44:45], s[18:19], -v[118:119]
	v_mul_f64 v[190:191], v[48:49], s[22:23]
	v_fma_f64 v[118:119], v[44:45], s[18:19], v[118:119]
	v_add_f64 v[136:137], v[136:137], v[196:197]
	v_fma_f64 v[194:195], v[46:47], s[18:19], v[190:191]
	v_add_f64 v[118:119], v[118:119], v[138:139]
	v_fma_f64 v[138:139], v[46:47], s[18:19], -v[190:191]
	v_mul_f64 v[190:191], v[50:51], s[58:59]
	v_add_f64 v[194:195], v[194:195], v[200:201]
	v_add_f64 v[138:139], v[138:139], v[198:199]
	v_fma_f64 v[196:197], v[44:45], s[38:39], -v[190:191]
	v_fma_f64 v[190:191], v[44:45], s[38:39], v[190:191]
	v_mul_f64 v[198:199], v[48:49], s[58:59]
	v_add_f64 v[196:197], v[196:197], v[204:205]
	v_add_f64 v[190:191], v[190:191], v[202:203]
	v_mul_f64 v[202:203], v[50:51], s[52:53]
	v_fma_f64 v[200:201], v[46:47], s[38:39], v[198:199]
	v_fma_f64 v[198:199], v[46:47], s[38:39], -v[198:199]
	v_fma_f64 v[204:205], v[44:45], s[12:13], -v[202:203]
	v_fma_f64 v[202:203], v[44:45], s[12:13], v[202:203]
	v_add_f64 v[198:199], v[198:199], v[206:207]
	v_mul_f64 v[206:207], v[48:49], s[52:53]
	v_add_f64 v[200:201], v[200:201], v[208:209]
	v_add_f64 v[204:205], v[204:205], v[214:215]
	v_add_f64 v[202:203], v[202:203], v[210:211]
	v_mul_f64 v[210:211], v[50:51], s[42:43]
	v_fma_f64 v[208:209], v[46:47], s[12:13], v[206:207]
	v_fma_f64 v[206:207], v[46:47], s[12:13], -v[206:207]
	v_fma_f64 v[214:215], v[44:45], s[20:21], -v[210:211]
	v_fma_f64 v[210:211], v[44:45], s[20:21], v[210:211]
	v_add_f64 v[206:207], v[206:207], v[216:217]
	v_mul_f64 v[216:217], v[48:49], s[42:43]
	v_add_f64 v[208:209], v[208:209], v[218:219]
	;; [unrolled: 10-line block ×3, first 2 shown]
	v_add_f64 v[222:223], v[222:223], v[230:231]
	v_add_f64 v[220:221], v[220:221], v[228:229]
	v_mul_f64 v[228:229], v[50:51], s[44:45]
	v_fma_f64 v[226:227], v[46:47], s[26:27], v[224:225]
	v_fma_f64 v[224:225], v[46:47], s[26:27], -v[224:225]
	v_mul_f64 v[50:51], v[50:51], s[30:31]
	v_fma_f64 v[230:231], v[44:45], s[6:7], -v[228:229]
	v_fma_f64 v[228:229], v[44:45], s[6:7], v[228:229]
	v_add_f64 v[224:225], v[224:225], v[232:233]
	v_mul_f64 v[232:233], v[48:49], s[44:45]
	v_mul_f64 v[48:49], v[48:49], s[30:31]
	v_add_f64 v[226:227], v[226:227], v[234:235]
	v_add_f64 v[230:231], v[230:231], v[238:239]
	v_add_f64 v[228:229], v[228:229], v[236:237]
	v_fma_f64 v[236:237], v[44:45], s[28:29], -v[50:51]
	v_fma_f64 v[44:45], v[44:45], s[28:29], v[50:51]
	v_add_f64 v[50:51], v[182:183], -v[188:189]
	v_fma_f64 v[234:235], v[46:47], s[6:7], v[232:233]
	v_fma_f64 v[232:233], v[46:47], s[6:7], -v[232:233]
	v_fma_f64 v[238:239], v[46:47], s[28:29], v[48:49]
	v_add_f64 v[236:237], v[236:237], v[244:245]
	v_add_f64 v[40:41], v[44:45], v[40:41]
	v_fma_f64 v[44:45], v[46:47], s[28:29], -v[48:49]
	v_add_f64 v[46:47], v[182:183], v[188:189]
	v_mul_f64 v[182:183], v[50:51], s[44:45]
	v_add_f64 v[48:49], v[186:187], -v[192:193]
	v_add_f64 v[232:233], v[232:233], v[240:241]
	v_add_f64 v[234:235], v[234:235], v[242:243]
	;; [unrolled: 1-line block ×5, first 2 shown]
	v_mul_f64 v[192:193], v[48:49], s[52:53]
	v_fma_f64 v[186:187], v[44:45], s[6:7], -v[182:183]
	v_fma_f64 v[182:183], v[44:45], s[6:7], v[182:183]
	v_add_f64 v[90:91], v[186:187], v[90:91]
	v_mul_f64 v[186:187], v[48:49], s[44:45]
	v_add_f64 v[52:53], v[182:183], v[52:53]
	v_fma_f64 v[182:183], v[46:47], s[6:7], -v[186:187]
	v_fma_f64 v[188:189], v[46:47], s[6:7], v[186:187]
	v_add_f64 v[88:89], v[182:183], v[88:89]
	v_mul_f64 v[182:183], v[50:51], s[40:41]
	v_add_f64 v[156:157], v[188:189], v[156:157]
	;; [unrolled: 5-line block ×4, first 2 shown]
	v_fma_f64 v[194:195], v[46:47], s[12:13], v[192:193]
	v_fma_f64 v[186:187], v[44:45], s[12:13], -v[182:183]
	v_fma_f64 v[182:183], v[44:45], s[12:13], v[182:183]
	v_add_f64 v[194:195], v[194:195], v[200:201]
	v_add_f64 v[186:187], v[186:187], v[196:197]
	;; [unrolled: 1-line block ×3, first 2 shown]
	v_fma_f64 v[190:191], v[46:47], s[12:13], -v[192:193]
	v_mul_f64 v[192:193], v[50:51], s[46:47]
	v_add_f64 v[190:191], v[190:191], v[198:199]
	v_fma_f64 v[196:197], v[44:45], s[26:27], -v[192:193]
	v_fma_f64 v[192:193], v[44:45], s[26:27], v[192:193]
	v_mul_f64 v[198:199], v[48:49], s[46:47]
	v_add_f64 v[196:197], v[196:197], v[204:205]
	v_add_f64 v[192:193], v[192:193], v[202:203]
	v_mul_f64 v[202:203], v[50:51], s[50:51]
	v_fma_f64 v[200:201], v[46:47], s[26:27], v[198:199]
	v_fma_f64 v[198:199], v[46:47], s[26:27], -v[198:199]
	v_fma_f64 v[204:205], v[44:45], s[16:17], -v[202:203]
	v_fma_f64 v[202:203], v[44:45], s[16:17], v[202:203]
	v_add_f64 v[198:199], v[198:199], v[206:207]
	v_mul_f64 v[206:207], v[48:49], s[50:51]
	v_add_f64 v[200:201], v[200:201], v[208:209]
	v_add_f64 v[204:205], v[204:205], v[214:215]
	;; [unrolled: 1-line block ×3, first 2 shown]
	v_mul_f64 v[210:211], v[50:51], s[30:31]
	v_fma_f64 v[208:209], v[46:47], s[16:17], v[206:207]
	v_fma_f64 v[206:207], v[46:47], s[16:17], -v[206:207]
	v_fma_f64 v[214:215], v[44:45], s[28:29], -v[210:211]
	v_fma_f64 v[210:211], v[44:45], s[28:29], v[210:211]
	v_add_f64 v[206:207], v[206:207], v[216:217]
	v_mul_f64 v[216:217], v[48:49], s[30:31]
	v_add_f64 v[208:209], v[208:209], v[218:219]
	v_add_f64 v[214:215], v[214:215], v[222:223]
	;; [unrolled: 1-line block ×3, first 2 shown]
	v_mul_f64 v[220:221], v[50:51], s[56:57]
	v_fma_f64 v[218:219], v[46:47], s[28:29], v[216:217]
	v_fma_f64 v[216:217], v[46:47], s[28:29], -v[216:217]
	v_mul_f64 v[50:51], v[50:51], s[42:43]
	v_fma_f64 v[222:223], v[44:45], s[18:19], -v[220:221]
	v_fma_f64 v[220:221], v[44:45], s[18:19], v[220:221]
	v_add_f64 v[216:217], v[216:217], v[224:225]
	v_mul_f64 v[224:225], v[48:49], s[56:57]
	v_mul_f64 v[48:49], v[48:49], s[42:43]
	v_add_f64 v[218:219], v[218:219], v[226:227]
	v_add_f64 v[222:223], v[222:223], v[230:231]
	;; [unrolled: 1-line block ×3, first 2 shown]
	v_fma_f64 v[228:229], v[44:45], s[20:21], -v[50:51]
	v_fma_f64 v[44:45], v[44:45], s[20:21], v[50:51]
	v_add_f64 v[50:51], v[176:177], -v[178:179]
	v_fma_f64 v[226:227], v[46:47], s[18:19], v[224:225]
	v_fma_f64 v[224:225], v[46:47], s[18:19], -v[224:225]
	v_fma_f64 v[230:231], v[46:47], s[20:21], v[48:49]
	v_add_f64 v[228:229], v[228:229], v[236:237]
	v_add_f64 v[40:41], v[44:45], v[40:41]
	v_fma_f64 v[44:45], v[46:47], s[20:21], -v[48:49]
	v_add_f64 v[46:47], v[176:177], v[178:179]
	v_mul_f64 v[176:177], v[50:51], s[14:15]
	v_add_f64 v[48:49], v[180:181], -v[184:185]
	v_add_f64 v[224:225], v[224:225], v[232:233]
	v_add_f64 v[226:227], v[226:227], v[234:235]
	;; [unrolled: 1-line block ×5, first 2 shown]
	v_mul_f64 v[184:185], v[48:49], s[42:43]
	v_fma_f64 v[178:179], v[44:45], s[12:13], -v[176:177]
	v_fma_f64 v[176:177], v[44:45], s[12:13], v[176:177]
	v_add_f64 v[90:91], v[178:179], v[90:91]
	v_mul_f64 v[178:179], v[48:49], s[14:15]
	v_add_f64 v[52:53], v[176:177], v[52:53]
	v_fma_f64 v[176:177], v[46:47], s[12:13], -v[178:179]
	v_fma_f64 v[180:181], v[46:47], s[12:13], v[178:179]
	v_add_f64 v[88:89], v[176:177], v[88:89]
	v_mul_f64 v[176:177], v[50:51], s[54:55]
	v_add_f64 v[156:157], v[180:181], v[156:157]
	;; [unrolled: 5-line block ×4, first 2 shown]
	v_fma_f64 v[178:179], v[44:45], s[20:21], -v[176:177]
	v_fma_f64 v[176:177], v[44:45], s[20:21], v[176:177]
	v_add_f64 v[178:179], v[178:179], v[186:187]
	v_fma_f64 v[186:187], v[46:47], s[20:21], v[184:185]
	v_add_f64 v[176:177], v[176:177], v[182:183]
	v_fma_f64 v[182:183], v[46:47], s[20:21], -v[184:185]
	v_mul_f64 v[184:185], v[50:51], s[50:51]
	v_add_f64 v[186:187], v[186:187], v[194:195]
	v_add_f64 v[182:183], v[182:183], v[190:191]
	v_fma_f64 v[188:189], v[44:45], s[16:17], -v[184:185]
	v_fma_f64 v[184:185], v[44:45], s[16:17], v[184:185]
	v_mul_f64 v[190:191], v[48:49], s[50:51]
	v_add_f64 v[188:189], v[188:189], v[196:197]
	v_add_f64 v[184:185], v[184:185], v[192:193]
	v_mul_f64 v[192:193], v[50:51], s[40:41]
	v_fma_f64 v[194:195], v[46:47], s[16:17], v[190:191]
	v_fma_f64 v[190:191], v[46:47], s[16:17], -v[190:191]
	v_fma_f64 v[196:197], v[44:45], s[38:39], -v[192:193]
	v_fma_f64 v[192:193], v[44:45], s[38:39], v[192:193]
	v_add_f64 v[190:191], v[190:191], v[198:199]
	v_mul_f64 v[198:199], v[48:49], s[40:41]
	v_add_f64 v[194:195], v[194:195], v[200:201]
	v_add_f64 v[196:197], v[196:197], v[204:205]
	;; [unrolled: 1-line block ×3, first 2 shown]
	v_mul_f64 v[202:203], v[50:51], s[34:35]
	v_fma_f64 v[200:201], v[46:47], s[38:39], v[198:199]
	v_fma_f64 v[198:199], v[46:47], s[38:39], -v[198:199]
	v_fma_f64 v[204:205], v[44:45], s[6:7], -v[202:203]
	v_fma_f64 v[202:203], v[44:45], s[6:7], v[202:203]
	v_add_f64 v[198:199], v[198:199], v[206:207]
	v_mul_f64 v[206:207], v[48:49], s[34:35]
	v_add_f64 v[200:201], v[200:201], v[208:209]
	v_add_f64 v[204:205], v[204:205], v[214:215]
	;; [unrolled: 1-line block ×3, first 2 shown]
	v_mul_f64 v[210:211], v[50:51], s[36:37]
	v_fma_f64 v[208:209], v[46:47], s[6:7], v[206:207]
	v_fma_f64 v[206:207], v[46:47], s[6:7], -v[206:207]
	v_mul_f64 v[50:51], v[50:51], s[22:23]
	v_fma_f64 v[214:215], v[44:45], s[26:27], -v[210:211]
	v_fma_f64 v[210:211], v[44:45], s[26:27], v[210:211]
	v_add_f64 v[206:207], v[206:207], v[216:217]
	v_mul_f64 v[216:217], v[48:49], s[36:37]
	v_mul_f64 v[48:49], v[48:49], s[22:23]
	v_add_f64 v[208:209], v[208:209], v[218:219]
	v_add_f64 v[214:215], v[214:215], v[222:223]
	;; [unrolled: 1-line block ×3, first 2 shown]
	v_fma_f64 v[220:221], v[44:45], s[18:19], -v[50:51]
	v_fma_f64 v[44:45], v[44:45], s[18:19], v[50:51]
	v_add_f64 v[50:51], v[168:169], -v[170:171]
	v_fma_f64 v[218:219], v[46:47], s[26:27], v[216:217]
	v_fma_f64 v[216:217], v[46:47], s[26:27], -v[216:217]
	v_fma_f64 v[222:223], v[46:47], s[18:19], v[48:49]
	v_add_f64 v[220:221], v[220:221], v[228:229]
	v_add_f64 v[40:41], v[44:45], v[40:41]
	v_fma_f64 v[44:45], v[46:47], s[18:19], -v[48:49]
	v_add_f64 v[46:47], v[168:169], v[170:171]
	v_mul_f64 v[168:169], v[50:51], s[22:23]
	v_add_f64 v[48:49], v[172:173], -v[174:175]
	v_add_f64 v[216:217], v[216:217], v[224:225]
	v_add_f64 v[218:219], v[218:219], v[226:227]
	;; [unrolled: 1-line block ×5, first 2 shown]
	v_mul_f64 v[174:175], v[48:49], s[36:37]
	v_fma_f64 v[170:171], v[44:45], s[18:19], -v[168:169]
	v_fma_f64 v[168:169], v[44:45], s[18:19], v[168:169]
	v_add_f64 v[90:91], v[170:171], v[90:91]
	v_mul_f64 v[170:171], v[48:49], s[22:23]
	v_add_f64 v[52:53], v[168:169], v[52:53]
	v_fma_f64 v[168:169], v[46:47], s[18:19], -v[170:171]
	v_fma_f64 v[172:173], v[46:47], s[18:19], v[170:171]
	v_add_f64 v[88:89], v[168:169], v[88:89]
	v_mul_f64 v[168:169], v[50:51], s[52:53]
	v_add_f64 v[156:157], v[172:173], v[156:157]
	v_fma_f64 v[170:171], v[44:45], s[12:13], -v[168:169]
	v_fma_f64 v[168:169], v[44:45], s[12:13], v[168:169]
	v_add_f64 v[136:137], v[170:171], v[136:137]
	v_mul_f64 v[170:171], v[48:49], s[52:53]
	v_add_f64 v[118:119], v[168:169], v[118:119]
	v_fma_f64 v[168:169], v[46:47], s[12:13], -v[170:171]
	v_fma_f64 v[172:173], v[46:47], s[12:13], v[170:171]
	v_add_f64 v[138:139], v[168:169], v[138:139]
	v_mul_f64 v[168:169], v[50:51], s[36:37]
	v_add_f64 v[172:173], v[172:173], v[180:181]
	v_fma_f64 v[170:171], v[44:45], s[26:27], -v[168:169]
	v_fma_f64 v[168:169], v[44:45], s[26:27], v[168:169]
	v_add_f64 v[170:171], v[170:171], v[178:179]
	v_fma_f64 v[178:179], v[46:47], s[26:27], v[174:175]
	v_add_f64 v[168:169], v[168:169], v[176:177]
	v_fma_f64 v[174:175], v[46:47], s[26:27], -v[174:175]
	v_mul_f64 v[176:177], v[50:51], s[30:31]
	v_add_f64 v[178:179], v[178:179], v[186:187]
	v_add_f64 v[174:175], v[174:175], v[182:183]
	v_fma_f64 v[180:181], v[44:45], s[28:29], -v[176:177]
	v_mul_f64 v[182:183], v[48:49], s[30:31]
	v_fma_f64 v[176:177], v[44:45], s[28:29], v[176:177]
	v_add_f64 v[180:181], v[180:181], v[188:189]
	v_fma_f64 v[186:187], v[46:47], s[28:29], v[182:183]
	v_add_f64 v[176:177], v[176:177], v[184:185]
	v_mul_f64 v[184:185], v[50:51], s[34:35]
	v_fma_f64 v[182:183], v[46:47], s[28:29], -v[182:183]
	v_add_f64 v[194:195], v[186:187], v[194:195]
	v_fma_f64 v[186:187], v[44:45], s[6:7], -v[184:185]
	v_fma_f64 v[184:185], v[44:45], s[6:7], v[184:185]
	v_add_f64 v[182:183], v[182:183], v[190:191]
	v_add_f64 v[196:197], v[186:187], v[196:197]
	v_mul_f64 v[186:187], v[48:49], s[34:35]
	v_add_f64 v[224:225], v[184:185], v[192:193]
	v_fma_f64 v[184:185], v[46:47], s[6:7], -v[186:187]
	v_fma_f64 v[188:189], v[46:47], s[6:7], v[186:187]
	v_add_f64 v[226:227], v[184:185], v[198:199]
	v_mul_f64 v[184:185], v[50:51], s[48:49]
	v_add_f64 v[200:201], v[188:189], v[200:201]
	v_fma_f64 v[186:187], v[44:45], s[20:21], -v[184:185]
	v_fma_f64 v[184:185], v[44:45], s[20:21], v[184:185]
	;; [unrolled: 5-line block ×3, first 2 shown]
	v_add_f64 v[230:231], v[184:185], v[206:207]
	v_mul_f64 v[184:185], v[50:51], s[40:41]
	v_mul_f64 v[50:51], v[50:51], s[24:25]
	v_add_f64 v[228:229], v[188:189], v[208:209]
	v_fma_f64 v[186:187], v[44:45], s[38:39], -v[184:185]
	v_fma_f64 v[184:185], v[44:45], s[38:39], v[184:185]
	v_add_f64 v[214:215], v[186:187], v[214:215]
	v_mul_f64 v[186:187], v[48:49], s[40:41]
	v_add_f64 v[210:211], v[184:185], v[210:211]
	v_mul_f64 v[48:49], v[48:49], s[24:25]
	v_fma_f64 v[184:185], v[46:47], s[38:39], -v[186:187]
	v_fma_f64 v[188:189], v[46:47], s[38:39], v[186:187]
	v_add_f64 v[216:217], v[184:185], v[216:217]
	v_fma_f64 v[184:185], v[44:45], s[16:17], -v[50:51]
	v_fma_f64 v[44:45], v[44:45], s[16:17], v[50:51]
	v_add_f64 v[50:51], v[160:161], v[162:163]
	v_add_f64 v[160:161], v[160:161], -v[162:163]
	v_add_f64 v[218:219], v[188:189], v[218:219]
	v_add_f64 v[220:221], v[184:185], v[220:221]
	;; [unrolled: 1-line block ×3, first 2 shown]
	v_fma_f64 v[44:45], v[46:47], s[16:17], -v[48:49]
	v_fma_f64 v[184:185], v[46:47], s[16:17], v[48:49]
	v_add_f64 v[46:47], v[164:165], v[166:167]
	v_add_f64 v[164:165], v[164:165], -v[166:167]
	v_add_f64 v[42:43], v[44:45], v[42:43]
	v_mul_f64 v[44:45], v[160:161], s[30:31]
	v_add_f64 v[222:223], v[184:185], v[222:223]
	v_fma_f64 v[48:49], v[46:47], s[28:29], -v[44:45]
	v_fma_f64 v[44:45], v[46:47], s[28:29], v[44:45]
	v_add_f64 v[166:167], v[48:49], v[90:91]
	v_mul_f64 v[48:49], v[164:165], s[30:31]
	v_add_f64 v[52:53], v[44:45], v[52:53]
	v_fma_f64 v[44:45], v[50:51], s[28:29], -v[48:49]
	v_fma_f64 v[90:91], v[50:51], s[28:29], v[48:49]
	;; [unrolled: 5-line block ×3, first 2 shown]
	v_add_f64 v[234:235], v[48:49], v[136:137]
	v_mul_f64 v[48:49], v[164:165], s[24:25]
	v_add_f64 v[238:239], v[44:45], v[118:119]
	v_add_f64 v[136:137], v[116:117], v[158:159]
	v_add_f64 v[116:117], v[116:117], -v[158:159]
	v_fma_f64 v[44:45], v[50:51], s[16:17], -v[48:49]
	v_fma_f64 v[88:89], v[50:51], s[16:17], v[48:49]
	v_add_f64 v[240:241], v[44:45], v[138:139]
	v_mul_f64 v[44:45], v[160:161], s[44:45]
	v_add_f64 v[236:237], v[88:89], v[172:173]
	v_fma_f64 v[48:49], v[46:47], s[6:7], -v[44:45]
	v_fma_f64 v[44:45], v[46:47], s[6:7], v[44:45]
	v_add_f64 v[242:243], v[48:49], v[170:171]
	v_mul_f64 v[48:49], v[164:165], s[44:45]
	v_add_f64 v[184:185], v[44:45], v[168:169]
	;; [unrolled: 5-line block ×4, first 2 shown]
	v_fma_f64 v[88:89], v[50:51], s[18:19], v[48:49]
	v_fma_f64 v[44:45], v[50:51], s[18:19], -v[48:49]
	v_add_f64 v[190:191], v[88:89], v[194:195]
	v_add_f64 v[194:195], v[44:45], v[182:183]
	v_mul_f64 v[44:45], v[160:161], s[36:37]
	v_mul_f64 v[88:89], v[164:165], s[36:37]
	v_fma_f64 v[48:49], v[46:47], s[26:27], -v[44:45]
	v_fma_f64 v[44:45], v[46:47], s[26:27], v[44:45]
	v_add_f64 v[196:197], v[48:49], v[196:197]
	v_fma_f64 v[48:49], v[50:51], s[26:27], v[88:89]
	v_add_f64 v[198:199], v[48:49], v[200:201]
	v_add_f64 v[48:49], v[44:45], v[224:225]
	v_fma_f64 v[44:45], v[50:51], s[26:27], -v[88:89]
	v_mul_f64 v[88:89], v[160:161], s[40:41]
	v_add_f64 v[44:45], v[44:45], v[226:227]
	v_fma_f64 v[90:91], v[46:47], s[38:39], -v[88:89]
	v_fma_f64 v[88:89], v[46:47], s[38:39], v[88:89]
	v_add_f64 v[208:209], v[90:91], v[204:205]
	v_mul_f64 v[90:91], v[164:165], s[40:41]
	v_add_f64 v[204:205], v[88:89], v[202:203]
	v_fma_f64 v[88:89], v[50:51], s[38:39], -v[90:91]
	v_fma_f64 v[118:119], v[50:51], s[38:39], v[90:91]
	v_add_f64 v[202:203], v[88:89], v[230:231]
	;; [unrolled: 5-line block ×5, first 2 shown]
	v_mul_f64 v[90:91], v[164:165], s[14:15]
	v_fma_f64 v[118:119], v[50:51], s[12:13], v[90:91]
	v_add_f64 v[138:139], v[118:119], v[222:223]
	v_add_f64 v[118:119], v[46:47], v[40:41]
	v_fma_f64 v[40:41], v[50:51], s[12:13], -v[90:91]
	v_add_f64 v[90:91], v[72:73], v[74:75]
	v_add_f64 v[72:73], v[72:73], -v[74:75]
	v_add_f64 v[88:89], v[40:41], v[42:43]
	v_mul_f64 v[40:41], v[72:73], s[40:41]
	v_fma_f64 v[42:43], v[136:137], s[38:39], -v[40:41]
	v_fma_f64 v[40:41], v[136:137], s[38:39], v[40:41]
	v_add_f64 v[164:165], v[42:43], v[166:167]
	v_mul_f64 v[42:43], v[116:117], s[40:41]
	v_add_f64 v[50:51], v[40:41], v[52:53]
	v_fma_f64 v[40:41], v[90:91], s[38:39], -v[42:43]
	v_fma_f64 v[46:47], v[90:91], s[38:39], v[42:43]
	v_add_f64 v[52:53], v[40:41], v[232:233]
	v_mul_f64 v[40:41], v[72:73], s[46:47]
	v_add_f64 v[166:167], v[46:47], v[156:157]
	;; [unrolled: 5-line block ×15, first 2 shown]
	v_fma_f64 v[40:41], v[90:91], s[6:7], -v[42:43]
	v_fma_f64 v[44:45], v[90:91], s[6:7], v[42:43]
	v_add_f64 v[42:43], v[80:81], v[2:3]
	v_add_f64 v[242:243], v[40:41], v[88:89]
	;; [unrolled: 1-line block ×3, first 2 shown]
	buffer_store_dword v70, off, s[60:63], 0 offset:2048 ; 4-byte Folded Spill
	s_nop 0
	buffer_store_dword v71, off, s[60:63], 0 offset:2052 ; 4-byte Folded Spill
	buffer_store_dword v0, off, s[60:63], 0 offset:2080 ; 4-byte Folded Spill
	s_nop 0
	buffer_store_dword v1, off, s[60:63], 0 offset:2084 ; 4-byte Folded Spill
	v_add_f64 v[238:239], v[44:45], v[138:139]
	v_add_f64 v[44:45], v[70:71], -v[0:1]
	buffer_load_dword v70, off, s[60:63], 0 offset:1784 ; 4-byte Folded Reload
	buffer_load_dword v71, off, s[60:63], 0 offset:1788 ; 4-byte Folded Reload
	s_nop 0
	buffer_store_dword v80, off, s[60:63], 0 offset:2056 ; 4-byte Folded Spill
	s_nop 0
	buffer_store_dword v81, off, s[60:63], 0 offset:2060 ; 4-byte Folded Spill
	buffer_store_dword v2, off, s[60:63], 0 offset:2072 ; 4-byte Folded Spill
	s_nop 0
	buffer_store_dword v3, off, s[60:63], 0 offset:2076 ; 4-byte Folded Spill
	v_mul_f64 v[74:75], v[44:45], s[36:37]
	v_mul_f64 v[118:119], v[44:45], s[48:49]
	;; [unrolled: 1-line block ×8, first 2 shown]
	v_fma_f64 v[88:89], v[42:43], s[26:27], v[74:75]
	v_fma_f64 v[74:75], v[42:43], s[26:27], -v[74:75]
	v_fma_f64 v[136:137], v[42:43], s[20:21], v[118:119]
	v_fma_f64 v[118:119], v[42:43], s[20:21], -v[118:119]
	;; [unrolled: 2-line block ×8, first 2 shown]
	v_add_f64 v[88:89], v[78:79], v[88:89]
	v_add_f64 v[74:75], v[78:79], v[74:75]
	v_add_f64 v[136:137], v[78:79], v[136:137]
	v_add_f64 v[118:119], v[78:79], v[118:119]
	v_add_f64 v[160:161], v[78:79], v[160:161]
	v_add_f64 v[158:159], v[78:79], v[158:159]
	v_add_f64 v[200:201], v[78:79], v[200:201]
	v_add_f64 v[178:179], v[78:79], v[178:179]
	v_add_f64 v[208:209], v[78:79], v[208:209]
	v_add_f64 v[206:207], v[78:79], v[206:207]
	v_add_f64 v[244:245], v[78:79], v[244:245]
	v_add_f64 v[246:247], v[78:79], v[246:247]
	v_add_f64 v[42:43], v[78:79], v[42:43]
	v_add_f64 v[56:57], v[78:79], v[56:57]
	v_add_f64 v[252:253], v[78:79], v[252:253]
	v_add_f64 v[254:255], v[78:79], v[254:255]
	v_add_f64 v[46:47], v[80:81], -v[2:3]
	s_waitcnt vmcnt(4)
	v_add_f64 v[44:45], v[70:71], v[10:11]
	buffer_store_dword v10, off, s[60:63], 0 offset:2096 ; 4-byte Folded Spill
	s_nop 0
	buffer_store_dword v11, off, s[60:63], 0 offset:2100 ; 4-byte Folded Spill
	v_mul_f64 v[48:49], v[46:47], s[36:37]
	v_mul_f64 v[90:91], v[46:47], s[48:49]
	v_mul_f64 v[138:139], v[46:47], s[50:51]
	v_mul_f64 v[162:163], v[46:47], s[44:45]
	v_mul_f64 v[202:203], v[46:47], s[14:15]
	v_mul_f64 v[210:211], v[46:47], s[22:23]
	v_mul_f64 v[248:249], v[46:47], s[30:31]
	v_mul_f64 v[46:47], v[46:47], s[40:41]
	v_fma_f64 v[72:73], v[40:41], s[26:27], -v[48:49]
	v_fma_f64 v[48:49], v[40:41], s[26:27], v[48:49]
	v_fma_f64 v[116:117], v[40:41], s[20:21], -v[90:91]
	v_fma_f64 v[90:91], v[40:41], s[20:21], v[90:91]
	;; [unrolled: 2-line block ×8, first 2 shown]
	v_add_f64 v[46:47], v[82:83], v[16:17]
	buffer_store_dword v82, off, s[60:63], 0 offset:2064 ; 4-byte Folded Spill
	s_nop 0
	buffer_store_dword v83, off, s[60:63], 0 offset:2068 ; 4-byte Folded Spill
	buffer_store_dword v16, off, s[60:63], 0 offset:2104 ; 4-byte Folded Spill
	s_nop 0
	buffer_store_dword v17, off, s[60:63], 0 offset:2108 ; 4-byte Folded Spill
	v_add_f64 v[72:73], v[76:77], v[72:73]
	v_add_f64 v[48:49], v[76:77], v[48:49]
	;; [unrolled: 1-line block ×6, first 2 shown]
	buffer_load_dword v80, off, s[60:63], 0 offset:1776 ; 4-byte Folded Reload
	buffer_load_dword v81, off, s[60:63], 0 offset:1780 ; 4-byte Folded Reload
	;; [unrolled: 1-line block ×4, first 2 shown]
	v_add_f64 v[176:177], v[76:77], v[176:177]
	v_add_f64 v[162:163], v[76:77], v[162:163]
	;; [unrolled: 1-line block ×10, first 2 shown]
	v_add_f64 v[24:25], v[70:71], -v[10:11]
	v_add_f64 v[26:27], v[82:83], -v[16:17]
	v_mul_f64 v[32:33], v[26:27], s[48:49]
	v_fma_f64 v[34:35], v[44:45], s[20:21], -v[32:33]
	v_fma_f64 v[32:33], v[44:45], s[20:21], v[32:33]
	v_add_f64 v[34:35], v[34:35], v[72:73]
	v_mul_f64 v[72:73], v[24:25], s[48:49]
	v_add_f64 v[32:33], v[32:33], v[48:49]
	v_fma_f64 v[58:59], v[46:47], s[20:21], v[72:73]
	v_fma_f64 v[48:49], v[46:47], s[20:21], -v[72:73]
	v_mul_f64 v[72:73], v[26:27], s[44:45]
	v_add_f64 v[58:59], v[58:59], v[88:89]
	v_add_f64 v[48:49], v[48:49], v[74:75]
	v_fma_f64 v[74:75], v[44:45], s[6:7], -v[72:73]
	v_mul_f64 v[88:89], v[24:25], s[44:45]
	v_fma_f64 v[72:73], v[44:45], s[6:7], v[72:73]
	v_add_f64 v[74:75], v[74:75], v[116:117]
	v_fma_f64 v[116:117], v[46:47], s[6:7], v[88:89]
	v_add_f64 v[72:73], v[72:73], v[90:91]
	v_fma_f64 v[88:89], v[46:47], s[6:7], -v[88:89]
	v_mul_f64 v[90:91], v[26:27], s[22:23]
	v_add_f64 v[116:117], v[116:117], v[136:137]
	v_mul_f64 v[136:137], v[24:25], s[22:23]
	v_add_f64 v[88:89], v[88:89], v[118:119]
	v_fma_f64 v[118:119], v[44:45], s[18:19], -v[90:91]
	v_fma_f64 v[90:91], v[44:45], s[18:19], v[90:91]
	v_add_f64 v[118:119], v[118:119], v[156:157]
	v_fma_f64 v[156:157], v[46:47], s[18:19], v[136:137]
	v_add_f64 v[90:91], v[90:91], v[138:139]
	v_fma_f64 v[136:137], v[46:47], s[18:19], -v[136:137]
	v_mul_f64 v[138:139], v[26:27], s[40:41]
	v_add_f64 v[156:157], v[156:157], v[160:161]
	v_mul_f64 v[160:161], v[24:25], s[40:41]
	v_add_f64 v[136:137], v[136:137], v[158:159]
	v_fma_f64 v[158:159], v[44:45], s[38:39], -v[138:139]
	;; [unrolled: 10-line block ×4, first 2 shown]
	v_fma_f64 v[202:203], v[44:45], s[12:13], v[202:203]
	v_add_f64 v[206:207], v[206:207], v[214:215]
	v_fma_f64 v[214:215], v[46:47], s[12:13], v[208:209]
	v_add_f64 v[202:203], v[202:203], v[210:211]
	v_fma_f64 v[208:209], v[46:47], s[12:13], -v[208:209]
	v_mul_f64 v[210:211], v[26:27], s[24:25]
	v_mul_f64 v[26:27], v[26:27], s[46:47]
	v_add_f64 v[214:215], v[214:215], v[246:247]
	v_mul_f64 v[246:247], v[24:25], s[24:25]
	v_add_f64 v[208:209], v[208:209], v[244:245]
	v_fma_f64 v[244:245], v[44:45], s[16:17], -v[210:211]
	v_fma_f64 v[210:211], v[44:45], s[16:17], v[210:211]
	v_mul_f64 v[24:25], v[24:25], s[46:47]
	v_add_f64 v[244:245], v[244:245], v[250:251]
	v_add_f64 v[210:211], v[210:211], v[248:249]
	v_fma_f64 v[248:249], v[44:45], s[26:27], -v[26:27]
	v_fma_f64 v[26:27], v[44:45], s[26:27], v[26:27]
	v_fma_f64 v[250:251], v[46:47], s[16:17], v[246:247]
	v_fma_f64 v[246:247], v[46:47], s[16:17], -v[246:247]
	v_add_f64 v[54:55], v[248:249], v[54:55]
	v_fma_f64 v[248:249], v[46:47], s[26:27], v[24:25]
	v_fma_f64 v[24:25], v[46:47], s[26:27], -v[24:25]
	v_add_f64 v[26:27], v[26:27], v[40:41]
	s_waitcnt vmcnt(2)
	v_add_f64 v[40:41], v[80:81], v[30:31]
	buffer_store_dword v30, off, s[60:63], 0 offset:2128 ; 4-byte Folded Spill
	s_nop 0
	buffer_store_dword v31, off, s[60:63], 0 offset:2132 ; 4-byte Folded Spill
	v_add_f64 v[246:247], v[246:247], v[252:253]
	v_add_f64 v[250:251], v[250:251], v[254:255]
	;; [unrolled: 1-line block ×4, first 2 shown]
	s_waitcnt vmcnt(2)
	v_add_f64 v[42:43], v[0:1], v[60:61]
	buffer_store_dword v60, off, s[60:63], 0 offset:2136 ; 4-byte Folded Spill
	s_nop 0
	buffer_store_dword v61, off, s[60:63], 0 offset:2140 ; 4-byte Folded Spill
	buffer_load_dword v82, off, s[60:63], 0 offset:1768 ; 4-byte Folded Reload
	buffer_load_dword v83, off, s[60:63], 0 offset:1772 ; 4-byte Folded Reload
	v_add_f64 v[44:45], v[80:81], -v[30:31]
	v_add_f64 v[46:47], v[0:1], -v[60:61]
	v_mov_b32_e32 v0, v66
	v_mov_b32_e32 v1, v67
	v_mul_f64 v[248:249], v[46:47], s[50:51]
	v_fma_f64 v[252:253], v[40:41], s[16:17], -v[248:249]
	v_fma_f64 v[248:249], v[40:41], s[16:17], v[248:249]
	v_add_f64 v[34:35], v[252:253], v[34:35]
	v_mul_f64 v[252:253], v[44:45], s[50:51]
	v_add_f64 v[32:33], v[248:249], v[32:33]
	v_fma_f64 v[248:249], v[42:43], s[16:17], -v[252:253]
	v_fma_f64 v[254:255], v[42:43], s[16:17], v[252:253]
	v_add_f64 v[48:49], v[248:249], v[48:49]
	v_mul_f64 v[248:249], v[46:47], s[22:23]
	v_add_f64 v[58:59], v[254:255], v[58:59]
	;; [unrolled: 5-line block ×11, first 2 shown]
	v_fma_f64 v[248:249], v[42:43], s[26:27], -v[252:253]
	v_fma_f64 v[254:255], v[42:43], s[26:27], v[252:253]
	v_add_f64 v[208:209], v[248:249], v[208:209]
	v_mul_f64 v[248:249], v[46:47], s[44:45]
	v_mul_f64 v[46:47], v[46:47], s[30:31]
	v_add_f64 v[214:215], v[254:255], v[214:215]
	v_fma_f64 v[252:253], v[40:41], s[6:7], -v[248:249]
	v_fma_f64 v[248:249], v[40:41], s[6:7], v[248:249]
	v_add_f64 v[244:245], v[252:253], v[244:245]
	v_mul_f64 v[252:253], v[44:45], s[44:45]
	v_add_f64 v[210:211], v[248:249], v[210:211]
	v_mul_f64 v[44:45], v[44:45], s[30:31]
	v_fma_f64 v[248:249], v[42:43], s[6:7], -v[252:253]
	v_fma_f64 v[254:255], v[42:43], s[6:7], v[252:253]
	v_add_f64 v[246:247], v[248:249], v[246:247]
	v_fma_f64 v[248:249], v[40:41], s[28:29], -v[46:47]
	v_fma_f64 v[40:41], v[40:41], s[28:29], v[46:47]
	v_add_f64 v[250:251], v[254:255], v[250:251]
	v_add_f64 v[54:55], v[248:249], v[54:55]
	v_add_f64 v[26:27], v[40:41], v[26:27]
	v_fma_f64 v[40:41], v[42:43], s[28:29], -v[44:45]
	v_fma_f64 v[248:249], v[42:43], s[28:29], v[44:45]
	s_waitcnt vmcnt(0)
	v_add_f64 v[42:43], v[82:83], v[28:29]
	v_add_f64 v[24:25], v[40:41], v[24:25]
	;; [unrolled: 1-line block ×3, first 2 shown]
	buffer_store_dword v68, off, s[60:63], 0 offset:2088 ; 4-byte Folded Spill
	s_nop 0
	buffer_store_dword v69, off, s[60:63], 0 offset:2092 ; 4-byte Folded Spill
	buffer_store_dword v38, off, s[60:63], 0 offset:2112 ; 4-byte Folded Spill
	s_nop 0
	buffer_store_dword v39, off, s[60:63], 0 offset:2116 ; 4-byte Folded Spill
	;; [unrolled: 3-line block ×3, first 2 shown]
	v_add_f64 v[56:57], v[248:249], v[56:57]
	buffer_load_dword v2, off, s[60:63], 0 offset:1688 ; 4-byte Folded Reload
	buffer_load_dword v3, off, s[60:63], 0 offset:1692 ; 4-byte Folded Reload
	v_add_f64 v[44:45], v[68:69], -v[38:39]
	v_add_f64 v[46:47], v[82:83], -v[28:29]
	v_mov_b32_e32 v69, v7
	v_mov_b32_e32 v68, v6
	s_waitcnt vmcnt(0)
	v_mov_b32_e32 v39, v3
	v_mov_b32_e32 v38, v2
	v_mul_f64 v[248:249], v[46:47], s[44:45]
	v_fma_f64 v[252:253], v[40:41], s[6:7], -v[248:249]
	v_fma_f64 v[248:249], v[40:41], s[6:7], v[248:249]
	v_add_f64 v[34:35], v[252:253], v[34:35]
	v_mul_f64 v[252:253], v[44:45], s[44:45]
	v_add_f64 v[32:33], v[248:249], v[32:33]
	v_fma_f64 v[248:249], v[42:43], s[6:7], -v[252:253]
	v_fma_f64 v[254:255], v[42:43], s[6:7], v[252:253]
	v_add_f64 v[48:49], v[248:249], v[48:49]
	v_mul_f64 v[248:249], v[46:47], s[40:41]
	v_add_f64 v[58:59], v[254:255], v[58:59]
	;; [unrolled: 5-line block ×11, first 2 shown]
	v_fma_f64 v[248:249], v[42:43], s[28:29], -v[252:253]
	v_fma_f64 v[254:255], v[42:43], s[28:29], v[252:253]
	v_add_f64 v[208:209], v[248:249], v[208:209]
	v_mul_f64 v[248:249], v[46:47], s[56:57]
	v_mul_f64 v[46:47], v[46:47], s[42:43]
	v_add_f64 v[214:215], v[254:255], v[214:215]
	v_fma_f64 v[252:253], v[40:41], s[18:19], -v[248:249]
	v_fma_f64 v[248:249], v[40:41], s[18:19], v[248:249]
	v_add_f64 v[244:245], v[252:253], v[244:245]
	v_mul_f64 v[252:253], v[44:45], s[56:57]
	v_add_f64 v[210:211], v[248:249], v[210:211]
	v_mul_f64 v[44:45], v[44:45], s[42:43]
	v_fma_f64 v[248:249], v[42:43], s[18:19], -v[252:253]
	v_fma_f64 v[254:255], v[42:43], s[18:19], v[252:253]
	v_add_f64 v[246:247], v[248:249], v[246:247]
	v_fma_f64 v[248:249], v[40:41], s[20:21], -v[46:47]
	v_fma_f64 v[40:41], v[40:41], s[20:21], v[46:47]
	v_add_f64 v[46:47], v[0:1], -v[36:37]
	v_add_f64 v[250:251], v[254:255], v[250:251]
	v_add_f64 v[54:55], v[248:249], v[54:55]
	v_fma_f64 v[248:249], v[42:43], s[20:21], v[44:45]
	v_add_f64 v[26:27], v[40:41], v[26:27]
	v_fma_f64 v[40:41], v[42:43], s[20:21], -v[44:45]
	v_add_f64 v[44:45], v[2:3], -v[6:7]
	v_add_f64 v[42:43], v[0:1], v[36:37]
	v_add_f64 v[56:57], v[248:249], v[56:57]
	v_mul_f64 v[248:249], v[46:47], s[14:15]
	v_add_f64 v[24:25], v[40:41], v[24:25]
	v_add_f64 v[40:41], v[2:3], v[6:7]
	buffer_load_dword v2, off, s[60:63], 0 offset:1656 ; 4-byte Folded Reload
	buffer_load_dword v3, off, s[60:63], 0 offset:1660 ; 4-byte Folded Reload
	;; [unrolled: 1-line block ×10, first 2 shown]
	v_fma_f64 v[252:253], v[40:41], s[12:13], -v[248:249]
	v_fma_f64 v[248:249], v[40:41], s[12:13], v[248:249]
	v_add_f64 v[34:35], v[252:253], v[34:35]
	v_mul_f64 v[252:253], v[44:45], s[14:15]
	v_add_f64 v[32:33], v[248:249], v[32:33]
	v_fma_f64 v[248:249], v[42:43], s[12:13], -v[252:253]
	v_fma_f64 v[254:255], v[42:43], s[12:13], v[252:253]
	v_add_f64 v[48:49], v[248:249], v[48:49]
	v_mul_f64 v[248:249], v[46:47], s[54:55]
	v_add_f64 v[58:59], v[254:255], v[58:59]
	;; [unrolled: 5-line block ×4, first 2 shown]
	v_fma_f64 v[252:253], v[40:41], s[20:21], -v[248:249]
	v_fma_f64 v[248:249], v[40:41], s[20:21], v[248:249]
	s_waitcnt vmcnt(8)
	v_mov_b32_e32 v7, v3
	s_waitcnt vmcnt(6)
	v_mov_b32_e32 v85, v1
	v_mov_b32_e32 v84, v0
	v_add_f64 v[118:119], v[252:253], v[118:119]
	v_mul_f64 v[252:253], v[44:45], s[42:43]
	v_add_f64 v[90:91], v[248:249], v[90:91]
	s_waitcnt vmcnt(2)
	v_mov_b32_e32 v87, v17
	v_mov_b32_e32 v86, v16
	;; [unrolled: 1-line block ×4, first 2 shown]
	s_waitcnt vmcnt(0)
	v_mov_b32_e32 v97, v19
	v_mov_b32_e32 v96, v18
	v_fma_f64 v[248:249], v[42:43], s[20:21], -v[252:253]
	v_fma_f64 v[254:255], v[42:43], s[20:21], v[252:253]
	v_mov_b32_e32 v6, v2
	v_add_f64 v[136:137], v[248:249], v[136:137]
	v_mul_f64 v[248:249], v[46:47], s[50:51]
	v_add_f64 v[156:157], v[254:255], v[156:157]
	v_fma_f64 v[252:253], v[40:41], s[16:17], -v[248:249]
	v_fma_f64 v[248:249], v[40:41], s[16:17], v[248:249]
	v_add_f64 v[158:159], v[252:253], v[158:159]
	v_mul_f64 v[252:253], v[44:45], s[50:51]
	v_add_f64 v[138:139], v[248:249], v[138:139]
	v_fma_f64 v[248:249], v[42:43], s[16:17], -v[252:253]
	v_fma_f64 v[254:255], v[42:43], s[16:17], v[252:253]
	v_add_f64 v[160:161], v[248:249], v[160:161]
	v_mul_f64 v[248:249], v[46:47], s[40:41]
	v_add_f64 v[176:177], v[254:255], v[176:177]
	v_fma_f64 v[252:253], v[40:41], s[38:39], -v[248:249]
	v_fma_f64 v[248:249], v[40:41], s[38:39], v[248:249]
	v_add_f64 v[178:179], v[252:253], v[178:179]
	v_mul_f64 v[252:253], v[44:45], s[40:41]
	v_add_f64 v[162:163], v[248:249], v[162:163]
	v_fma_f64 v[248:249], v[42:43], s[38:39], -v[252:253]
	v_fma_f64 v[254:255], v[42:43], s[38:39], v[252:253]
	v_add_f64 v[200:201], v[248:249], v[200:201]
	v_mul_f64 v[248:249], v[46:47], s[34:35]
	v_add_f64 v[204:205], v[254:255], v[204:205]
	v_fma_f64 v[252:253], v[40:41], s[6:7], -v[248:249]
	v_fma_f64 v[248:249], v[40:41], s[6:7], v[248:249]
	v_add_f64 v[206:207], v[252:253], v[206:207]
	v_mul_f64 v[252:253], v[44:45], s[34:35]
	v_add_f64 v[202:203], v[248:249], v[202:203]
	v_fma_f64 v[248:249], v[42:43], s[6:7], -v[252:253]
	v_fma_f64 v[254:255], v[42:43], s[6:7], v[252:253]
	v_add_f64 v[208:209], v[248:249], v[208:209]
	v_mul_f64 v[248:249], v[46:47], s[36:37]
	v_mul_f64 v[46:47], v[46:47], s[22:23]
	v_add_f64 v[214:215], v[254:255], v[214:215]
	v_fma_f64 v[252:253], v[40:41], s[26:27], -v[248:249]
	v_fma_f64 v[248:249], v[40:41], s[26:27], v[248:249]
	v_add_f64 v[244:245], v[252:253], v[244:245]
	v_mul_f64 v[252:253], v[44:45], s[36:37]
	v_add_f64 v[210:211], v[248:249], v[210:211]
	v_mul_f64 v[44:45], v[44:45], s[22:23]
	v_fma_f64 v[248:249], v[42:43], s[26:27], -v[252:253]
	v_fma_f64 v[254:255], v[42:43], s[26:27], v[252:253]
	v_add_f64 v[246:247], v[248:249], v[246:247]
	v_fma_f64 v[248:249], v[40:41], s[18:19], -v[46:47]
	v_fma_f64 v[40:41], v[40:41], s[18:19], v[46:47]
	v_add_f64 v[46:47], v[0:1], -v[62:63]
	v_add_f64 v[250:251], v[254:255], v[250:251]
	v_add_f64 v[54:55], v[248:249], v[54:55]
	v_fma_f64 v[248:249], v[42:43], s[18:19], v[44:45]
	v_add_f64 v[26:27], v[40:41], v[26:27]
	v_fma_f64 v[40:41], v[42:43], s[18:19], -v[44:45]
	v_add_f64 v[44:45], v[2:3], -v[8:9]
	v_add_f64 v[42:43], v[0:1], v[62:63]
	v_add_f64 v[56:57], v[248:249], v[56:57]
	v_mul_f64 v[248:249], v[46:47], s[22:23]
	v_add_f64 v[24:25], v[40:41], v[24:25]
	v_add_f64 v[40:41], v[2:3], v[8:9]
	v_fma_f64 v[252:253], v[40:41], s[18:19], -v[248:249]
	v_fma_f64 v[248:249], v[40:41], s[18:19], v[248:249]
	v_add_f64 v[34:35], v[252:253], v[34:35]
	v_mul_f64 v[252:253], v[44:45], s[22:23]
	v_add_f64 v[32:33], v[248:249], v[32:33]
	v_fma_f64 v[248:249], v[42:43], s[18:19], -v[252:253]
	v_fma_f64 v[254:255], v[42:43], s[18:19], v[252:253]
	v_add_f64 v[48:49], v[248:249], v[48:49]
	v_mul_f64 v[248:249], v[46:47], s[52:53]
	;; [unrolled: 5-line block ×10, first 2 shown]
	v_add_f64 v[204:205], v[254:255], v[204:205]
	v_fma_f64 v[252:253], v[40:41], s[20:21], -v[248:249]
	v_add_f64 v[206:207], v[252:253], v[206:207]
	v_mul_f64 v[252:253], v[44:45], s[48:49]
	v_fma_f64 v[254:255], v[42:43], s[20:21], v[252:253]
	v_add_f64 v[60:61], v[254:255], v[214:215]
	v_fma_f64 v[214:215], v[40:41], s[20:21], v[248:249]
	v_add_f64 v[202:203], v[214:215], v[202:203]
	v_fma_f64 v[214:215], v[42:43], s[20:21], -v[252:253]
	v_add_f64 v[62:63], v[214:215], v[208:209]
	v_mul_f64 v[208:209], v[46:47], s[40:41]
	v_mul_f64 v[46:47], v[46:47], s[24:25]
	v_fma_f64 v[214:215], v[40:41], s[38:39], -v[208:209]
	v_fma_f64 v[208:209], v[40:41], s[38:39], v[208:209]
	v_add_f64 v[0:1], v[214:215], v[244:245]
	v_mul_f64 v[214:215], v[44:45], s[40:41]
	v_add_f64 v[64:65], v[208:209], v[210:211]
	v_mul_f64 v[44:45], v[44:45], s[24:25]
	v_fma_f64 v[208:209], v[42:43], s[38:39], -v[214:215]
	v_fma_f64 v[244:245], v[42:43], s[38:39], v[214:215]
	v_add_f64 v[8:9], v[208:209], v[246:247]
	v_fma_f64 v[208:209], v[40:41], s[16:17], -v[46:47]
	v_fma_f64 v[40:41], v[40:41], s[16:17], v[46:47]
	v_add_f64 v[46:47], v[16:17], v[18:19]
	v_add_f64 v[16:17], v[16:17], -v[18:19]
	v_add_f64 v[2:3], v[244:245], v[250:251]
	v_add_f64 v[54:55], v[208:209], v[54:55]
	;; [unrolled: 1-line block ×3, first 2 shown]
	v_fma_f64 v[40:41], v[42:43], s[16:17], -v[44:45]
	v_fma_f64 v[208:209], v[42:43], s[16:17], v[44:45]
	v_mul_f64 v[42:43], v[16:17], s[30:31]
	v_add_f64 v[24:25], v[40:41], v[24:25]
	v_add_f64 v[40:41], v[4:5], v[10:11]
	v_add_f64 v[10:11], v[4:5], -v[10:11]
	v_add_f64 v[56:57], v[208:209], v[56:57]
	v_fma_f64 v[44:45], v[40:41], s[28:29], -v[42:43]
	v_fma_f64 v[42:43], v[40:41], s[28:29], v[42:43]
	v_add_f64 v[34:35], v[44:45], v[34:35]
	v_mul_f64 v[44:45], v[10:11], s[30:31]
	v_add_f64 v[32:33], v[42:43], v[32:33]
	v_fma_f64 v[42:43], v[46:47], s[28:29], -v[44:45]
	v_fma_f64 v[208:209], v[46:47], s[28:29], v[44:45]
	v_add_f64 v[18:19], v[42:43], v[48:49]
	v_mul_f64 v[42:43], v[16:17], s[24:25]
	;; [unrolled: 5-line block ×3, first 2 shown]
	v_add_f64 v[36:37], v[42:43], v[72:73]
	v_mul_f64 v[72:73], v[10:11], s[36:37]
	v_fma_f64 v[42:43], v[46:47], s[16:17], -v[44:45]
	v_fma_f64 v[48:49], v[46:47], s[16:17], v[44:45]
	v_add_f64 v[4:5], v[42:43], v[88:89]
	v_mul_f64 v[42:43], v[16:17], s[44:45]
	v_add_f64 v[30:31], v[48:49], v[116:117]
	v_fma_f64 v[44:45], v[40:41], s[6:7], -v[42:43]
	v_fma_f64 v[42:43], v[40:41], s[6:7], v[42:43]
	v_add_f64 v[252:253], v[44:45], v[118:119]
	v_mul_f64 v[44:45], v[10:11], s[44:45]
	v_add_f64 v[250:251], v[42:43], v[90:91]
	;; [unrolled: 5-line block ×4, first 2 shown]
	v_fma_f64 v[48:49], v[46:47], s[18:19], v[44:45]
	v_fma_f64 v[42:43], v[46:47], s[18:19], -v[44:45]
	v_mul_f64 v[44:45], v[16:17], s[36:37]
	v_add_f64 v[246:247], v[48:49], v[176:177]
	v_add_f64 v[42:43], v[42:43], v[160:161]
	v_fma_f64 v[48:49], v[40:41], s[26:27], -v[44:45]
	v_fma_f64 v[44:45], v[40:41], s[26:27], v[44:45]
	v_add_f64 v[208:209], v[48:49], v[178:179]
	v_fma_f64 v[48:49], v[46:47], s[26:27], v[72:73]
	v_add_f64 v[210:211], v[48:49], v[204:205]
	v_add_f64 v[48:49], v[44:45], v[162:163]
	v_fma_f64 v[44:45], v[46:47], s[26:27], -v[72:73]
	v_mul_f64 v[72:73], v[16:17], s[40:41]
	v_add_f64 v[44:45], v[44:45], v[200:201]
	v_fma_f64 v[74:75], v[40:41], s[38:39], -v[72:73]
	v_add_f64 v[204:205], v[74:75], v[206:207]
	v_mul_f64 v[74:75], v[10:11], s[40:41]
	v_fma_f64 v[88:89], v[46:47], s[38:39], v[74:75]
	v_add_f64 v[206:207], v[88:89], v[60:61]
	v_fma_f64 v[60:61], v[40:41], s[38:39], v[72:73]
	v_add_f64 v[202:203], v[60:61], v[202:203]
	v_fma_f64 v[60:61], v[46:47], s[38:39], -v[74:75]
	v_add_f64 v[200:201], v[60:61], v[62:63]
	v_mul_f64 v[60:61], v[16:17], s[42:43]
	v_fma_f64 v[62:63], v[40:41], s[20:21], -v[60:61]
	v_add_f64 v[162:163], v[62:63], v[0:1]
	v_mul_f64 v[0:1], v[10:11], s[42:43]
	v_fma_f64 v[62:63], v[46:47], s[20:21], v[0:1]
	v_fma_f64 v[0:1], v[46:47], s[20:21], -v[0:1]
	v_add_f64 v[176:177], v[62:63], v[2:3]
	v_fma_f64 v[2:3], v[40:41], s[20:21], v[60:61]
	v_add_f64 v[138:139], v[0:1], v[8:9]
	v_mul_f64 v[0:1], v[16:17], s[14:15]
	v_add_f64 v[160:161], v[2:3], v[64:65]
	v_fma_f64 v[2:3], v[40:41], s[12:13], -v[0:1]
	v_fma_f64 v[0:1], v[40:41], s[12:13], v[0:1]
	v_add_f64 v[118:119], v[2:3], v[54:55]
	v_mul_f64 v[2:3], v[10:11], s[14:15]
	buffer_load_dword v54, off, s[60:63], 0 offset:1592 ; 4-byte Folded Reload
	buffer_load_dword v55, off, s[60:63], 0 offset:1596 ; 4-byte Folded Reload
	v_add_f64 v[74:75], v[0:1], v[26:27]
	v_fma_f64 v[8:9], v[46:47], s[12:13], v[2:3]
	v_fma_f64 v[0:1], v[46:47], s[12:13], -v[2:3]
	v_add_f64 v[116:117], v[8:9], v[56:57]
	buffer_load_dword v56, off, s[60:63], 0 offset:1576 ; 4-byte Folded Reload
	buffer_load_dword v57, off, s[60:63], 0 offset:1580 ; 4-byte Folded Reload
	;; [unrolled: 1-line block ×6, first 2 shown]
	v_add_f64 v[72:73], v[0:1], v[24:25]
	s_waitcnt vmcnt(2)
	v_add_f64 v[90:91], v[40:41], v[54:55]
	s_waitcnt vmcnt(0)
	v_add_f64 v[178:179], v[46:47], -v[56:57]
	v_add_f64 v[136:137], v[40:41], -v[54:55]
	v_add_f64 v[88:89], v[46:47], v[56:57]
	v_mul_f64 v[0:1], v[178:179], s[40:41]
	v_fma_f64 v[2:3], v[90:91], s[38:39], -v[0:1]
	v_fma_f64 v[0:1], v[90:91], s[38:39], v[0:1]
	v_add_f64 v[24:25], v[2:3], v[34:35]
	v_mul_f64 v[2:3], v[136:137], s[40:41]
	v_fma_f64 v[8:9], v[88:89], s[38:39], v[2:3]
	v_add_f64 v[26:27], v[8:9], v[58:59]
	v_add_f64 v[8:9], v[0:1], v[32:33]
	v_fma_f64 v[0:1], v[88:89], s[38:39], -v[2:3]
	buffer_store_dword v24, off, s[60:63], 0 offset:20 ; 4-byte Folded Spill
	s_nop 0
	buffer_store_dword v25, off, s[60:63], 0 offset:24 ; 4-byte Folded Spill
	buffer_store_dword v26, off, s[60:63], 0 offset:28 ; 4-byte Folded Spill
	;; [unrolled: 1-line block ×3, first 2 shown]
	v_add_f64 v[10:11], v[0:1], v[18:19]
	v_mul_f64 v[0:1], v[178:179], s[46:47]
	buffer_store_dword v8, off, s[60:63], 0 offset:52 ; 4-byte Folded Spill
	s_nop 0
	buffer_store_dword v9, off, s[60:63], 0 offset:56 ; 4-byte Folded Spill
	buffer_store_dword v10, off, s[60:63], 0 offset:60 ; 4-byte Folded Spill
	;; [unrolled: 1-line block ×3, first 2 shown]
	v_fma_f64 v[2:3], v[90:91], s[26:27], -v[0:1]
	v_fma_f64 v[0:1], v[90:91], s[26:27], v[0:1]
	v_add_f64 v[16:17], v[2:3], v[28:29]
	v_mul_f64 v[2:3], v[136:137], s[46:47]
	v_fma_f64 v[8:9], v[88:89], s[26:27], v[2:3]
	v_add_f64 v[18:19], v[8:9], v[30:31]
	v_add_f64 v[8:9], v[0:1], v[36:37]
	v_fma_f64 v[0:1], v[88:89], s[26:27], -v[2:3]
	buffer_store_dword v16, off, s[60:63], 0 offset:36 ; 4-byte Folded Spill
	s_nop 0
	buffer_store_dword v17, off, s[60:63], 0 offset:40 ; 4-byte Folded Spill
	buffer_store_dword v18, off, s[60:63], 0 offset:44 ; 4-byte Folded Spill
	;; [unrolled: 1-line block ×3, first 2 shown]
	v_add_f64 v[10:11], v[0:1], v[4:5]
	v_mul_f64 v[0:1], v[178:179], s[30:31]
	buffer_store_dword v8, off, s[60:63], 0 offset:84 ; 4-byte Folded Spill
	s_nop 0
	buffer_store_dword v9, off, s[60:63], 0 offset:88 ; 4-byte Folded Spill
	buffer_store_dword v10, off, s[60:63], 0 offset:92 ; 4-byte Folded Spill
	buffer_store_dword v11, off, s[60:63], 0 offset:96 ; 4-byte Folded Spill
	v_fma_f64 v[2:3], v[90:91], s[28:29], -v[0:1]
	v_fma_f64 v[0:1], v[90:91], s[28:29], v[0:1]
	v_add_f64 v[8:9], v[2:3], v[252:253]
	v_mul_f64 v[2:3], v[136:137], s[30:31]
	v_fma_f64 v[4:5], v[88:89], s[28:29], v[2:3]
	v_add_f64 v[10:11], v[4:5], v[254:255]
	buffer_store_dword v8, off, s[60:63], 0 offset:68 ; 4-byte Folded Spill
	s_nop 0
	buffer_store_dword v9, off, s[60:63], 0 offset:72 ; 4-byte Folded Spill
	buffer_store_dword v10, off, s[60:63], 0 offset:76 ; 4-byte Folded Spill
	buffer_store_dword v11, off, s[60:63], 0 offset:80 ; 4-byte Folded Spill
	v_add_f64 v[8:9], v[0:1], v[250:251]
	v_fma_f64 v[0:1], v[88:89], s[28:29], -v[2:3]
	v_add_f64 v[10:11], v[0:1], v[248:249]
	v_mul_f64 v[0:1], v[178:179], s[42:43]
	buffer_store_dword v8, off, s[60:63], 0 offset:116 ; 4-byte Folded Spill
	s_nop 0
	buffer_store_dword v9, off, s[60:63], 0 offset:120 ; 4-byte Folded Spill
	buffer_store_dword v10, off, s[60:63], 0 offset:124 ; 4-byte Folded Spill
	buffer_store_dword v11, off, s[60:63], 0 offset:128 ; 4-byte Folded Spill
	v_fma_f64 v[2:3], v[90:91], s[20:21], -v[0:1]
	v_fma_f64 v[0:1], v[90:91], s[20:21], v[0:1]
	v_add_f64 v[8:9], v[2:3], v[244:245]
	v_mul_f64 v[2:3], v[136:137], s[42:43]
	v_fma_f64 v[4:5], v[88:89], s[20:21], v[2:3]
	v_add_f64 v[10:11], v[4:5], v[246:247]
	buffer_store_dword v8, off, s[60:63], 0 offset:100 ; 4-byte Folded Spill
	s_nop 0
	buffer_store_dword v9, off, s[60:63], 0 offset:104 ; 4-byte Folded Spill
	buffer_store_dword v10, off, s[60:63], 0 offset:108 ; 4-byte Folded Spill
	buffer_store_dword v11, off, s[60:63], 0 offset:112 ; 4-byte Folded Spill
	v_add_f64 v[8:9], v[0:1], v[214:215]
	v_fma_f64 v[0:1], v[88:89], s[20:21], -v[2:3]
	;; [unrolled: 20-line block ×6, first 2 shown]
	v_add_f64 v[10:11], v[0:1], v[72:73]
	buffer_store_dword v8, off, s[60:63], 0 offset:260 ; 4-byte Folded Spill
	s_nop 0
	buffer_store_dword v9, off, s[60:63], 0 offset:264 ; 4-byte Folded Spill
	buffer_store_dword v10, off, s[60:63], 0 offset:268 ; 4-byte Folded Spill
	;; [unrolled: 1-line block ×3, first 2 shown]
	s_waitcnt lgkmcnt(0)
	; wave barrier
	s_waitcnt vmcnt(63) expcnt(7) lgkmcnt(15)
	buffer_load_dword v0, off, s[60:63], 0 offset:1432 ; 4-byte Folded Reload
	buffer_load_dword v1, off, s[60:63], 0 offset:1448 ; 4-byte Folded Reload
	s_waitcnt vmcnt(1)
	v_mul_u32_u24_e32 v0, 0x77, v0
	s_waitcnt vmcnt(0)
	v_add_u32_sdwa v0, v0, v1 dst_sel:DWORD dst_unused:UNUSED_PAD src0_sel:DWORD src1_sel:BYTE_0
	v_lshl_add_u32 v158, v0, 4, v213
	buffer_load_dword v0, off, s[60:63], 0 offset:1496 ; 4-byte Folded Reload
	buffer_load_dword v1, off, s[60:63], 0 offset:1500 ; 4-byte Folded Reload
	;; [unrolled: 1-line block ×4, first 2 shown]
	s_waitcnt vmcnt(0)
	ds_write_b128 v158, v[0:3]
	buffer_load_dword v0, off, s[60:63], 0 offset:1720 ; 4-byte Folded Reload
	buffer_load_dword v1, off, s[60:63], 0 offset:1724 ; 4-byte Folded Reload
	;; [unrolled: 1-line block ×4, first 2 shown]
	s_waitcnt vmcnt(0)
	ds_write_b128 v158, v[0:3] offset:112
	buffer_load_dword v0, off, s[60:63], 0 offset:1752 ; 4-byte Folded Reload
	buffer_load_dword v1, off, s[60:63], 0 offset:1756 ; 4-byte Folded Reload
	;; [unrolled: 1-line block ×4, first 2 shown]
	s_waitcnt vmcnt(0)
	ds_write_b128 v158, v[0:3] offset:224
	ds_write_b128 v158, v[104:107] offset:336
	;; [unrolled: 1-line block ×13, first 2 shown]
	buffer_load_dword v0, off, s[60:63], 0 offset:1736 ; 4-byte Folded Reload
	buffer_load_dword v1, off, s[60:63], 0 offset:1740 ; 4-byte Folded Reload
	;; [unrolled: 1-line block ×4, first 2 shown]
	s_waitcnt vmcnt(0)
	ds_write_b128 v158, v[0:3] offset:1680
	buffer_load_dword v0, off, s[60:63], 0 offset:1704 ; 4-byte Folded Reload
	buffer_load_dword v1, off, s[60:63], 0 offset:1708 ; 4-byte Folded Reload
	buffer_load_dword v2, off, s[60:63], 0 offset:1712 ; 4-byte Folded Reload
	buffer_load_dword v3, off, s[60:63], 0 offset:1716 ; 4-byte Folded Reload
	s_waitcnt vmcnt(0)
	ds_write_b128 v158, v[0:3] offset:1792
	buffer_load_dword v0, off, s[60:63], 0 offset:1464 ; 4-byte Folded Reload
	buffer_load_dword v1, off, s[60:63], 0 offset:1480 ; 4-byte Folded Reload
	s_waitcnt vmcnt(1)
	v_mul_u32_u24_e32 v0, 0x77, v0
	s_waitcnt vmcnt(0)
	v_add_u32_sdwa v0, v0, v1 dst_sel:DWORD dst_unused:UNUSED_PAD src0_sel:DWORD src1_sel:BYTE_0
	v_lshl_add_u32 v159, v0, 4, v213
	ds_write_b128 v159, v[152:155]
	ds_write_b128 v159, v[164:167] offset:112
	ds_write_b128 v159, v[172:175] offset:224
	;; [unrolled: 1-line block ×16, first 2 shown]
	s_mov_b64 s[6:7], exec
	s_and_b64 s[12:13], s[6:7], vcc
	v_mov_b32_e32 v196, v213
	s_mov_b64 exec, s[12:13]
	s_cbranch_execz .LBB0_5
; %bb.4:
	buffer_load_dword v0, off, s[60:63], 0 offset:2056 ; 4-byte Folded Reload
	buffer_load_dword v1, off, s[60:63], 0 offset:2060 ; 4-byte Folded Reload
	;; [unrolled: 1-line block ×6, first 2 shown]
	s_waitcnt vmcnt(4)
	v_add_f64 v[0:1], v[78:79], v[0:1]
	s_waitcnt vmcnt(2)
	v_add_f64 v[2:3], v[76:77], v[2:3]
	;; [unrolled: 2-line block ×3, first 2 shown]
	buffer_load_dword v4, off, s[60:63], 0 offset:276 ; 4-byte Folded Reload
	buffer_load_dword v5, off, s[60:63], 0 offset:280 ; 4-byte Folded Reload
	v_add_f64 v[2:3], v[2:3], v[70:71]
	v_add_f64 v[2:3], v[2:3], v[80:81]
	s_waitcnt vmcnt(0)
	v_add_f64 v[0:1], v[0:1], v[4:5]
	buffer_load_dword v4, off, s[60:63], 0 offset:2088 ; 4-byte Folded Reload
	buffer_load_dword v5, off, s[60:63], 0 offset:2092 ; 4-byte Folded Reload
	v_add_f64 v[0:1], v[0:1], v[82:83]
	v_add_f64 v[0:1], v[0:1], v[66:67]
	;; [unrolled: 1-line block ×9, first 2 shown]
	s_waitcnt vmcnt(0)
	v_add_f64 v[2:3], v[2:3], v[4:5]
	buffer_load_dword v4, off, s[60:63], 0 offset:2120 ; 4-byte Folded Reload
	buffer_load_dword v5, off, s[60:63], 0 offset:2124 ; 4-byte Folded Reload
	v_add_f64 v[2:3], v[2:3], v[38:39]
	v_add_f64 v[2:3], v[2:3], v[6:7]
	;; [unrolled: 1-line block ×8, first 2 shown]
	s_waitcnt vmcnt(0)
	v_add_f64 v[0:1], v[0:1], v[4:5]
	buffer_load_dword v4, off, s[60:63], 0 offset:2112 ; 4-byte Folded Reload
	buffer_load_dword v5, off, s[60:63], 0 offset:2116 ; 4-byte Folded Reload
	s_waitcnt vmcnt(0)
	v_add_f64 v[2:3], v[2:3], v[4:5]
	buffer_load_dword v4, off, s[60:63], 0 offset:2136 ; 4-byte Folded Reload
	buffer_load_dword v5, off, s[60:63], 0 offset:2140 ; 4-byte Folded Reload
	;; [unrolled: 4-line block ×4, first 2 shown]
	buffer_load_dword v10, off, s[60:63], 0 offset:24 ; 4-byte Folded Reload
	buffer_load_dword v11, off, s[60:63], 0 offset:28 ; 4-byte Folded Reload
	buffer_load_dword v12, off, s[60:63], 0 offset:32 ; 4-byte Folded Reload
	s_waitcnt vmcnt(4)
	v_and_b32_e32 v4, 0xff, v4
	v_lshl_add_u32 v8, v4, 4, v196
	s_waitcnt vmcnt(0)
	ds_write_b128 v8, v[9:12] offset:7728
	buffer_load_dword v9, off, s[60:63], 0 offset:36 ; 4-byte Folded Reload
	buffer_load_dword v10, off, s[60:63], 0 offset:40 ; 4-byte Folded Reload
	;; [unrolled: 1-line block ×4, first 2 shown]
	s_waitcnt vmcnt(0)
	ds_write_b128 v8, v[9:12] offset:7840
	buffer_load_dword v4, off, s[60:63], 0 offset:2104 ; 4-byte Folded Reload
	buffer_load_dword v5, off, s[60:63], 0 offset:2108 ; 4-byte Folded Reload
	s_waitcnt vmcnt(0)
	v_add_f64 v[0:1], v[0:1], v[4:5]
	buffer_load_dword v4, off, s[60:63], 0 offset:2096 ; 4-byte Folded Reload
	buffer_load_dword v5, off, s[60:63], 0 offset:2100 ; 4-byte Folded Reload
	;; [unrolled: 1-line block ×6, first 2 shown]
	s_waitcnt vmcnt(4)
	v_add_f64 v[4:5], v[2:3], v[4:5]
	s_waitcnt vmcnt(0)
	ds_write_b128 v8, v[9:12] offset:7952
	buffer_load_dword v9, off, s[60:63], 0 offset:100 ; 4-byte Folded Reload
	buffer_load_dword v10, off, s[60:63], 0 offset:104 ; 4-byte Folded Reload
	buffer_load_dword v11, off, s[60:63], 0 offset:108 ; 4-byte Folded Reload
	buffer_load_dword v12, off, s[60:63], 0 offset:112 ; 4-byte Folded Reload
	s_waitcnt vmcnt(0)
	ds_write_b128 v8, v[9:12] offset:8064
	buffer_load_dword v9, off, s[60:63], 0 offset:132 ; 4-byte Folded Reload
	buffer_load_dword v10, off, s[60:63], 0 offset:136 ; 4-byte Folded Reload
	buffer_load_dword v11, off, s[60:63], 0 offset:140 ; 4-byte Folded Reload
	buffer_load_dword v12, off, s[60:63], 0 offset:144 ; 4-byte Folded Reload
	;; [unrolled: 6-line block ×5, first 2 shown]
	s_waitcnt vmcnt(0)
	ds_write_b128 v8, v[9:12] offset:8512
	buffer_load_dword v2, off, s[60:63], 0 offset:2072 ; 4-byte Folded Reload
	buffer_load_dword v3, off, s[60:63], 0 offset:2076 ; 4-byte Folded Reload
	s_waitcnt vmcnt(0)
	v_add_f64 v[2:3], v[0:1], v[2:3]
	buffer_load_dword v0, off, s[60:63], 0 offset:2080 ; 4-byte Folded Reload
	buffer_load_dword v1, off, s[60:63], 0 offset:2084 ; 4-byte Folded Reload
	s_waitcnt vmcnt(0)
	v_add_f64 v[0:1], v[4:5], v[0:1]
	buffer_load_dword v4, off, s[60:63], 0 offset:260 ; 4-byte Folded Reload
	buffer_load_dword v5, off, s[60:63], 0 offset:264 ; 4-byte Folded Reload
	buffer_load_dword v6, off, s[60:63], 0 offset:268 ; 4-byte Folded Reload
	buffer_load_dword v7, off, s[60:63], 0 offset:272 ; 4-byte Folded Reload
	s_waitcnt vmcnt(0)
	ds_write_b128 v8, v[4:7] offset:8624
	buffer_load_dword v4, off, s[60:63], 0 offset:228 ; 4-byte Folded Reload
	buffer_load_dword v5, off, s[60:63], 0 offset:232 ; 4-byte Folded Reload
	buffer_load_dword v6, off, s[60:63], 0 offset:236 ; 4-byte Folded Reload
	buffer_load_dword v7, off, s[60:63], 0 offset:240 ; 4-byte Folded Reload
	s_waitcnt vmcnt(0)
	ds_write_b128 v8, v[4:7] offset:8736
	;; [unrolled: 6-line block ×7, first 2 shown]
	ds_write_b128 v8, v[0:3] offset:7616
	buffer_load_dword v0, off, s[60:63], 0 offset:52 ; 4-byte Folded Reload
	buffer_load_dword v1, off, s[60:63], 0 offset:56 ; 4-byte Folded Reload
	buffer_load_dword v2, off, s[60:63], 0 offset:60 ; 4-byte Folded Reload
	buffer_load_dword v3, off, s[60:63], 0 offset:64 ; 4-byte Folded Reload
	s_waitcnt vmcnt(0)
	ds_write_b128 v8, v[0:3] offset:9408
.LBB0_5:
	s_or_b64 exec, exec, s[6:7]
	buffer_load_dword v164, off, s[60:63], 0 ; 4-byte Folded Reload
	s_waitcnt lgkmcnt(0)
	; wave barrier
	s_waitcnt lgkmcnt(0)
	ds_read_b128 v[0:3], v212
	ds_read_b128 v[79:82], v212 offset:1904
	ds_read_b128 v[83:86], v212 offset:3808
	;; [unrolled: 1-line block ×34, first 2 shown]
	s_mov_b32 s12, 0x134454ff
	s_mov_b32 s13, 0x3fee6f0e
	;; [unrolled: 1-line block ×4, first 2 shown]
	s_add_u32 s6, s0, 0x2530
	s_addc_u32 s7, s1, 0
	s_mov_b32 s0, 0x4755a5e
	s_mov_b32 s1, 0x3fe2cf23
	;; [unrolled: 1-line block ×11, first 2 shown]
	s_waitcnt vmcnt(0)
	v_lshlrev_b32_e32 v78, 6, v164
	global_load_dwordx4 v[184:187], v78, s[2:3] offset:1840
	global_load_dwordx4 v[188:191], v78, s[2:3] offset:1824
	;; [unrolled: 1-line block ×4, first 2 shown]
	v_lshl_add_u32 v213, v164, 4, v196
	s_waitcnt vmcnt(0) lgkmcnt(14)
	v_mul_f64 v[76:77], v[81:82], v[118:119]
	v_fma_f64 v[154:155], v[79:80], v[116:117], -v[76:77]
	v_mul_f64 v[76:77], v[79:80], v[118:119]
	buffer_store_dword v116, off, s[60:63], 0 offset:276 ; 4-byte Folded Spill
	s_nop 0
	buffer_store_dword v117, off, s[60:63], 0 offset:280 ; 4-byte Folded Spill
	buffer_store_dword v118, off, s[60:63], 0 offset:284 ; 4-byte Folded Spill
	;; [unrolled: 1-line block ×3, first 2 shown]
	v_fma_f64 v[138:139], v[81:82], v[116:117], v[76:77]
	v_mul_f64 v[76:77], v[85:86], v[194:195]
	v_fma_f64 v[176:177], v[83:84], v[192:193], -v[76:77]
	v_mul_f64 v[76:77], v[83:84], v[194:195]
	v_fma_f64 v[146:147], v[85:86], v[192:193], v[76:77]
	v_mul_f64 v[76:77], v[98:99], v[190:191]
	v_fma_f64 v[246:247], v[96:97], v[188:189], -v[76:77]
	v_mul_f64 v[76:77], v[96:97], v[190:191]
	;; [unrolled: 4-line block ×3, first 2 shown]
	v_fma_f64 v[162:163], v[102:103], v[184:185], v[76:77]
	buffer_load_dword v76, off, s[60:63], 0 offset:1416 ; 4-byte Folded Reload
	s_waitcnt vmcnt(0)
	v_lshlrev_b32_e32 v76, 6, v76
	global_load_dwordx4 v[79:82], v76, s[2:3] offset:1840
	global_load_dwordx4 v[83:86], v76, s[2:3] offset:1824
	;; [unrolled: 1-line block ×4, first 2 shown]
	s_waitcnt vmcnt(0)
	v_mul_f64 v[76:77], v[106:107], v[102:103]
	v_fma_f64 v[136:137], v[104:105], v[100:101], -v[76:77]
	v_mul_f64 v[76:77], v[104:105], v[102:103]
	buffer_store_dword v100, off, s[60:63], 0 offset:1464 ; 4-byte Folded Spill
	s_nop 0
	buffer_store_dword v101, off, s[60:63], 0 offset:1468 ; 4-byte Folded Spill
	buffer_store_dword v102, off, s[60:63], 0 offset:1472 ; 4-byte Folded Spill
	buffer_store_dword v103, off, s[60:63], 0 offset:1476 ; 4-byte Folded Spill
	v_fma_f64 v[118:119], v[106:107], v[100:101], v[76:77]
	v_mul_f64 v[76:77], v[114:115], v[98:99]
	v_fma_f64 v[144:145], v[112:113], v[96:97], -v[76:77]
	v_mul_f64 v[76:77], v[112:113], v[98:99]
	buffer_store_dword v96, off, s[60:63], 0 offset:1448 ; 4-byte Folded Spill
	s_nop 0
	buffer_store_dword v97, off, s[60:63], 0 offset:1452 ; 4-byte Folded Spill
	buffer_store_dword v98, off, s[60:63], 0 offset:1456 ; 4-byte Folded Spill
	buffer_store_dword v99, off, s[60:63], 0 offset:1460 ; 4-byte Folded Spill
	v_fma_f64 v[178:179], v[114:115], v[96:97], v[76:77]
	;; [unrolled: 9-line block ×4, first 2 shown]
	buffer_load_dword v76, off, s[60:63], 0 offset:4 ; 4-byte Folded Reload
	s_waitcnt vmcnt(0)
	v_lshlrev_b32_e32 v76, 6, v76
	global_load_dwordx4 v[108:111], v76, s[2:3] offset:1840
	global_load_dwordx4 v[79:82], v76, s[2:3] offset:1824
	;; [unrolled: 1-line block ×4, first 2 shown]
	s_waitcnt vmcnt(0)
	v_mul_f64 v[76:77], v[94:95], v[98:99]
	v_fma_f64 v[122:123], v[92:93], v[96:97], -v[76:77]
	v_mul_f64 v[76:77], v[92:93], v[98:99]
	buffer_store_dword v96, off, s[60:63], 0 offset:1496 ; 4-byte Folded Spill
	s_nop 0
	buffer_store_dword v97, off, s[60:63], 0 offset:1500 ; 4-byte Folded Spill
	buffer_store_dword v98, off, s[60:63], 0 offset:1504 ; 4-byte Folded Spill
	buffer_store_dword v99, off, s[60:63], 0 offset:1508 ; 4-byte Folded Spill
	v_fma_f64 v[204:205], v[94:95], v[96:97], v[76:77]
	v_mul_f64 v[76:77], v[90:91], v[85:86]
	v_fma_f64 v[124:125], v[88:89], v[83:84], -v[76:77]
	v_mul_f64 v[76:77], v[88:89], v[85:86]
	buffer_store_dword v83, off, s[60:63], 0 offset:1480 ; 4-byte Folded Spill
	s_nop 0
	buffer_store_dword v84, off, s[60:63], 0 offset:1484 ; 4-byte Folded Spill
	buffer_store_dword v85, off, s[60:63], 0 offset:1488 ; 4-byte Folded Spill
	buffer_store_dword v86, off, s[60:63], 0 offset:1492 ; 4-byte Folded Spill
	v_fma_f64 v[208:209], v[90:91], v[83:84], v[76:77]
	;; [unrolled: 9-line block ×3, first 2 shown]
	v_mul_f64 v[74:75], v[70:71], v[110:111]
	v_fma_f64 v[130:131], v[68:69], v[108:109], -v[74:75]
	v_mul_f64 v[68:69], v[68:69], v[110:111]
	v_fma_f64 v[68:69], v[70:71], v[108:109], v[68:69]
	buffer_load_dword v70, off, s[60:63], 0 offset:1512 ; 4-byte Folded Reload
	s_waitcnt vmcnt(0)
	v_lshlrev_b32_e32 v70, 6, v70
	global_load_dwordx4 v[92:95], v70, s[2:3] offset:1840
	global_load_dwordx4 v[74:77], v70, s[2:3] offset:1824
	;; [unrolled: 1-line block ×4, first 2 shown]
	s_waitcnt vmcnt(0)
	v_mul_f64 v[70:71], v[66:67], v[85:86]
	v_fma_f64 v[112:113], v[64:65], v[83:84], -v[70:71]
	v_mul_f64 v[64:65], v[64:65], v[85:86]
	buffer_store_dword v83, off, s[60:63], 0 offset:1544 ; 4-byte Folded Spill
	s_nop 0
	buffer_store_dword v84, off, s[60:63], 0 offset:1548 ; 4-byte Folded Spill
	buffer_store_dword v85, off, s[60:63], 0 offset:1552 ; 4-byte Folded Spill
	buffer_store_dword v86, off, s[60:63], 0 offset:1556 ; 4-byte Folded Spill
	v_fma_f64 v[64:65], v[66:67], v[83:84], v[64:65]
	v_mul_f64 v[66:67], v[62:63], v[81:82]
	v_fma_f64 v[114:115], v[60:61], v[79:80], -v[66:67]
	v_mul_f64 v[60:61], v[60:61], v[81:82]
	buffer_store_dword v79, off, s[60:63], 0 offset:1528 ; 4-byte Folded Spill
	s_nop 0
	buffer_store_dword v80, off, s[60:63], 0 offset:1532 ; 4-byte Folded Spill
	buffer_store_dword v81, off, s[60:63], 0 offset:1536 ; 4-byte Folded Spill
	buffer_store_dword v82, off, s[60:63], 0 offset:1540 ; 4-byte Folded Spill
	v_fma_f64 v[60:61], v[62:63], v[79:80], v[60:61]
	;; [unrolled: 9-line block ×3, first 2 shown]
	v_mul_f64 v[58:59], v[54:55], v[94:95]
	v_fma_f64 v[58:59], v[52:53], v[92:93], -v[58:59]
	v_mul_f64 v[52:53], v[52:53], v[94:95]
	v_fma_f64 v[54:55], v[54:55], v[92:93], v[52:53]
	buffer_load_dword v52, off, s[60:63], 0 offset:1560 ; 4-byte Folded Reload
	s_waitcnt vmcnt(0)
	v_lshlrev_b32_e32 v52, 6, v52
	global_load_dwordx4 v[79:82], v52, s[2:3] offset:1840
	global_load_dwordx4 v[83:86], v52, s[2:3] offset:1824
	;; [unrolled: 1-line block ×4, first 2 shown]
	s_waitcnt vmcnt(0) lgkmcnt(13)
	v_mul_f64 v[52:53], v[50:51], v[89:90]
	v_fma_f64 v[62:63], v[48:49], v[87:88], -v[52:53]
	v_mul_f64 v[48:49], v[48:49], v[89:90]
	buffer_store_dword v87, off, s[60:63], 0 offset:1608 ; 4-byte Folded Spill
	s_nop 0
	buffer_store_dword v88, off, s[60:63], 0 offset:1612 ; 4-byte Folded Spill
	buffer_store_dword v89, off, s[60:63], 0 offset:1616 ; 4-byte Folded Spill
	buffer_store_dword v90, off, s[60:63], 0 offset:1620 ; 4-byte Folded Spill
	v_fma_f64 v[70:71], v[50:51], v[87:88], v[48:49]
	s_waitcnt lgkmcnt(12)
	v_mul_f64 v[48:49], v[46:47], v[76:77]
	v_fma_f64 v[66:67], v[44:45], v[74:75], -v[48:49]
	v_mul_f64 v[44:45], v[44:45], v[76:77]
	buffer_store_dword v74, off, s[60:63], 0 offset:1592 ; 4-byte Folded Spill
	s_nop 0
	buffer_store_dword v75, off, s[60:63], 0 offset:1596 ; 4-byte Folded Spill
	buffer_store_dword v76, off, s[60:63], 0 offset:1600 ; 4-byte Folded Spill
	buffer_store_dword v77, off, s[60:63], 0 offset:1604 ; 4-byte Folded Spill
	v_fma_f64 v[74:75], v[46:47], v[74:75], v[44:45]
	s_waitcnt lgkmcnt(11)
	v_mul_f64 v[44:45], v[42:43], v[85:86]
	v_fma_f64 v[106:107], v[40:41], v[83:84], -v[44:45]
	v_mul_f64 v[40:41], v[40:41], v[85:86]
	buffer_store_dword v83, off, s[60:63], 0 offset:1576 ; 4-byte Folded Spill
	s_nop 0
	buffer_store_dword v84, off, s[60:63], 0 offset:1580 ; 4-byte Folded Spill
	buffer_store_dword v85, off, s[60:63], 0 offset:1584 ; 4-byte Folded Spill
	buffer_store_dword v86, off, s[60:63], 0 offset:1588 ; 4-byte Folded Spill
	v_fma_f64 v[88:89], v[42:43], v[83:84], v[40:41]
	s_waitcnt lgkmcnt(10)
	v_mul_f64 v[40:41], v[38:39], v[81:82]
	v_fma_f64 v[200:201], v[36:37], v[79:80], -v[40:41]
	v_mul_f64 v[36:37], v[36:37], v[81:82]
	buffer_store_dword v79, off, s[60:63], 0 offset:1560 ; 4-byte Folded Spill
	s_nop 0
	buffer_store_dword v80, off, s[60:63], 0 offset:1564 ; 4-byte Folded Spill
	buffer_store_dword v81, off, s[60:63], 0 offset:1568 ; 4-byte Folded Spill
	;; [unrolled: 1-line block ×3, first 2 shown]
	v_fma_f64 v[90:91], v[38:39], v[79:80], v[36:37]
	v_add_u32_e32 v36, 0x1540, v78
	global_load_dwordx4 v[38:41], v36, s[2:3] offset:1840
	global_load_dwordx4 v[42:45], v36, s[2:3] offset:1824
	;; [unrolled: 1-line block ×4, first 2 shown]
	s_waitcnt vmcnt(0) lgkmcnt(8)
	v_mul_f64 v[36:37], v[34:35], v[52:53]
	v_fma_f64 v[86:87], v[32:33], v[50:51], -v[36:37]
	v_mul_f64 v[32:33], v[32:33], v[52:53]
	buffer_store_dword v50, off, s[60:63], 0 offset:1672 ; 4-byte Folded Spill
	s_nop 0
	buffer_store_dword v51, off, s[60:63], 0 offset:1676 ; 4-byte Folded Spill
	buffer_store_dword v52, off, s[60:63], 0 offset:1680 ; 4-byte Folded Spill
	;; [unrolled: 1-line block ×3, first 2 shown]
	v_add_f64 v[36:37], v[124:125], -v[128:129]
	v_add_f64 v[52:53], v[116:117], -v[58:59]
	v_fma_f64 v[210:211], v[34:35], v[50:51], v[32:33]
	s_waitcnt lgkmcnt(7)
	v_mul_f64 v[32:33], v[30:31], v[48:49]
	v_add_f64 v[34:35], v[204:205], -v[208:209]
	v_add_f64 v[50:51], v[114:115], -v[112:113]
	v_fma_f64 v[202:203], v[28:29], v[46:47], -v[32:33]
	v_mul_f64 v[28:29], v[28:29], v[48:49]
	buffer_store_dword v46, off, s[60:63], 0 offset:1656 ; 4-byte Folded Spill
	s_nop 0
	buffer_store_dword v47, off, s[60:63], 0 offset:1660 ; 4-byte Folded Spill
	buffer_store_dword v48, off, s[60:63], 0 offset:1664 ; 4-byte Folded Spill
	buffer_store_dword v49, off, s[60:63], 0 offset:1668 ; 4-byte Folded Spill
	v_add_f64 v[32:33], v[128:129], -v[130:131]
	v_add_f64 v[48:49], v[58:59], -v[116:117]
	v_add_f64 v[50:51], v[50:51], v[52:53]
	v_fma_f64 v[156:157], v[30:31], v[46:47], v[28:29]
	s_waitcnt lgkmcnt(6)
	v_mul_f64 v[28:29], v[26:27], v[44:45]
	v_add_f64 v[30:31], v[124:125], -v[122:123]
	v_add_f64 v[46:47], v[60:61], -v[56:57]
	v_fma_f64 v[206:207], v[24:25], v[42:43], -v[28:29]
	v_mul_f64 v[24:25], v[24:25], v[44:45]
	buffer_store_dword v42, off, s[60:63], 0 offset:1640 ; 4-byte Folded Spill
	s_nop 0
	buffer_store_dword v43, off, s[60:63], 0 offset:1644 ; 4-byte Folded Spill
	buffer_store_dword v44, off, s[60:63], 0 offset:1648 ; 4-byte Folded Spill
	;; [unrolled: 1-line block ×3, first 2 shown]
	v_add_f64 v[30:31], v[30:31], v[32:33]
	v_add_f64 v[44:45], v[112:113], -v[114:115]
	v_add_f64 v[48:49], v[44:45], v[48:49]
	v_fma_f64 v[214:215], v[26:27], v[42:43], v[24:25]
	s_waitcnt lgkmcnt(5)
	v_mul_f64 v[24:25], v[22:23], v[40:41]
	v_add_f64 v[42:43], v[72:73], -v[68:69]
	v_fma_f64 v[96:97], v[20:21], v[38:39], -v[24:25]
	v_mul_f64 v[20:21], v[20:21], v[40:41]
	buffer_store_dword v38, off, s[60:63], 0 offset:1624 ; 4-byte Folded Spill
	s_nop 0
	buffer_store_dword v39, off, s[60:63], 0 offset:1628 ; 4-byte Folded Spill
	buffer_store_dword v40, off, s[60:63], 0 offset:1632 ; 4-byte Folded Spill
	;; [unrolled: 1-line block ×3, first 2 shown]
	v_add_f64 v[40:41], v[208:209], -v[204:205]
	v_add_f64 v[40:41], v[40:41], v[42:43]
	v_add_f64 v[42:43], v[64:65], -v[54:55]
	v_fma_f64 v[76:77], v[22:23], v[38:39], v[20:21]
	v_add_u32_e32 v20, 0x1980, v78
	global_load_dwordx4 v[22:25], v20, s[2:3] offset:1840
	global_load_dwordx4 v[26:29], v20, s[2:3] offset:1824
	;; [unrolled: 1-line block ×4, first 2 shown]
	s_mov_b32 s2, 0x372fe950
	s_mov_b32 s3, 0x3fd3c6ef
	v_add_f64 v[38:39], v[68:69], -v[72:73]
	v_add_f64 v[34:35], v[34:35], v[38:39]
	s_waitcnt vmcnt(0) lgkmcnt(3)
	v_mul_f64 v[20:21], v[18:19], v[142:143]
	v_fma_f64 v[98:99], v[16:17], v[140:141], -v[20:21]
	v_mul_f64 v[16:17], v[16:17], v[142:143]
	v_add_f64 v[20:21], v[126:127], -v[120:121]
	v_fma_f64 v[78:79], v[18:19], v[140:141], v[16:17]
	s_waitcnt lgkmcnt(2)
	v_mul_f64 v[16:17], v[14:15], v[134:135]
	v_add_f64 v[18:19], v[118:119], -v[178:179]
	v_fma_f64 v[100:101], v[12:13], v[132:133], -v[16:17]
	v_mul_f64 v[12:13], v[12:13], v[134:135]
	v_add_f64 v[16:17], v[148:149], -v[152:153]
	v_add_f64 v[18:19], v[18:19], v[20:21]
	v_fma_f64 v[80:81], v[14:15], v[132:133], v[12:13]
	s_waitcnt lgkmcnt(1)
	v_mul_f64 v[12:13], v[10:11], v[28:29]
	v_add_f64 v[14:15], v[250:251], -v[246:247]
	v_fma_f64 v[102:103], v[8:9], v[26:27], -v[12:13]
	v_mul_f64 v[8:9], v[8:9], v[28:29]
	buffer_store_dword v26, off, s[60:63], 0 offset:1704 ; 4-byte Folded Spill
	s_nop 0
	buffer_store_dword v27, off, s[60:63], 0 offset:1708 ; 4-byte Folded Spill
	buffer_store_dword v28, off, s[60:63], 0 offset:1712 ; 4-byte Folded Spill
	;; [unrolled: 1-line block ×3, first 2 shown]
	v_add_f64 v[12:13], v[154:155], -v[176:177]
	v_add_f64 v[28:29], v[130:131], -v[128:129]
	v_add_f64 v[12:13], v[12:13], v[14:15]
	v_add_f64 v[14:15], v[144:145], -v[136:137]
	v_add_f64 v[14:15], v[14:15], v[16:17]
	v_add_f64 v[16:17], v[144:145], -v[148:149]
	v_fma_f64 v[82:83], v[10:11], v[26:27], v[8:9]
	s_waitcnt lgkmcnt(0)
	v_mul_f64 v[8:9], v[6:7], v[24:25]
	v_add_f64 v[10:11], v[146:147], -v[150:151]
	v_add_f64 v[26:27], v[208:209], -v[72:73]
	v_fma_f64 v[104:105], v[4:5], v[22:23], -v[8:9]
	v_mul_f64 v[4:5], v[4:5], v[24:25]
	buffer_store_dword v22, off, s[60:63], 0 offset:1688 ; 4-byte Folded Spill
	s_nop 0
	buffer_store_dword v23, off, s[60:63], 0 offset:1692 ; 4-byte Folded Spill
	buffer_store_dword v24, off, s[60:63], 0 offset:1696 ; 4-byte Folded Spill
	;; [unrolled: 1-line block ×3, first 2 shown]
	v_add_f64 v[24:25], v[120:121], -v[126:127]
	v_fma_f64 v[84:85], v[6:7], v[22:23], v[4:5]
	v_add_f64 v[4:5], v[0:1], v[154:155]
	v_add_f64 v[6:7], v[138:139], -v[162:163]
	v_add_f64 v[22:23], v[178:179], -v[118:119]
	v_add_f64 v[4:5], v[4:5], v[176:177]
	v_add_f64 v[22:23], v[22:23], v[24:25]
	v_add_f64 v[24:25], v[122:123], -v[124:125]
	v_add_f64 v[4:5], v[4:5], v[246:247]
	v_add_f64 v[28:29], v[24:25], v[28:29]
	;; [unrolled: 1-line block ×4, first 2 shown]
	v_fma_f64 v[4:5], v[4:5], -0.5, v[0:1]
	v_fma_f64 v[8:9], v[6:7], s[12:13], v[4:5]
	v_fma_f64 v[4:5], v[6:7], s[14:15], v[4:5]
	;; [unrolled: 1-line block ×6, first 2 shown]
	v_add_f64 v[4:5], v[154:155], v[250:251]
	v_add_f64 v[8:9], v[176:177], -v[154:155]
	v_add_f64 v[12:13], v[246:247], -v[250:251]
	v_fma_f64 v[0:1], v[4:5], -0.5, v[0:1]
	v_add_f64 v[8:9], v[8:9], v[12:13]
	v_add_f64 v[12:13], v[162:163], -v[150:151]
	v_fma_f64 v[4:5], v[10:11], s[14:15], v[0:1]
	v_fma_f64 v[0:1], v[10:11], s[12:13], v[0:1]
	v_add_f64 v[10:11], v[138:139], -v[146:147]
	v_fma_f64 v[4:5], v[6:7], s[0:1], v[4:5]
	v_fma_f64 v[0:1], v[6:7], s[16:17], v[0:1]
	v_add_f64 v[10:11], v[10:11], v[12:13]
	v_add_f64 v[12:13], v[152:153], -v[148:149]
	v_fma_f64 v[160:161], v[8:9], s[2:3], v[4:5]
	v_fma_f64 v[252:253], v[8:9], s[2:3], v[0:1]
	v_add_f64 v[0:1], v[2:3], v[138:139]
	v_add_f64 v[4:5], v[154:155], -v[250:251]
	v_add_f64 v[8:9], v[176:177], -v[246:247]
	v_add_f64 v[0:1], v[0:1], v[146:147]
	v_add_f64 v[0:1], v[0:1], v[150:151]
	;; [unrolled: 1-line block ×4, first 2 shown]
	ds_write_b128 v212, v[240:243]
	v_fma_f64 v[0:1], v[0:1], -0.5, v[2:3]
	v_fma_f64 v[6:7], v[4:5], s[14:15], v[0:1]
	v_fma_f64 v[0:1], v[4:5], s[12:13], v[0:1]
	;; [unrolled: 1-line block ×6, first 2 shown]
	v_add_f64 v[0:1], v[138:139], v[162:163]
	v_add_f64 v[6:7], v[146:147], -v[138:139]
	v_add_f64 v[10:11], v[150:151], -v[162:163]
	v_fma_f64 v[0:1], v[0:1], -0.5, v[2:3]
	v_add_f64 v[6:7], v[6:7], v[10:11]
	v_add_f64 v[10:11], v[178:179], -v[120:121]
	v_fma_f64 v[2:3], v[8:9], s[12:13], v[0:1]
	v_fma_f64 v[0:1], v[8:9], s[14:15], v[0:1]
	v_add_f64 v[8:9], v[136:137], -v[144:145]
	v_fma_f64 v[2:3], v[4:5], s[16:17], v[2:3]
	v_fma_f64 v[0:1], v[4:5], s[0:1], v[0:1]
	v_add_f64 v[12:13], v[8:9], v[12:13]
	v_fma_f64 v[162:163], v[6:7], s[2:3], v[2:3]
	v_add_f64 v[2:3], v[144:145], v[148:149]
	v_fma_f64 v[254:255], v[6:7], s[2:3], v[0:1]
	v_add_f64 v[6:7], v[118:119], -v[126:127]
	v_add_f64 v[0:1], v[236:237], v[136:137]
	v_fma_f64 v[2:3], v[2:3], -0.5, v[236:237]
	v_add_f64 v[0:1], v[0:1], v[144:145]
	v_fma_f64 v[4:5], v[6:7], s[12:13], v[2:3]
	v_fma_f64 v[2:3], v[6:7], s[14:15], v[2:3]
	v_add_f64 v[0:1], v[0:1], v[148:149]
	v_fma_f64 v[4:5], v[10:11], s[0:1], v[4:5]
	v_fma_f64 v[2:3], v[10:11], s[16:17], v[2:3]
	;; [unrolled: 3-line block ×3, first 2 shown]
	v_add_f64 v[2:3], v[136:137], v[152:153]
	v_fma_f64 v[2:3], v[2:3], -0.5, v[236:237]
	v_fma_f64 v[12:13], v[10:11], s[14:15], v[2:3]
	v_fma_f64 v[2:3], v[10:11], s[12:13], v[2:3]
	;; [unrolled: 1-line block ×4, first 2 shown]
	v_add_f64 v[6:7], v[178:179], v[120:121]
	v_fma_f64 v[176:177], v[14:15], s[2:3], v[12:13]
	v_fma_f64 v[12:13], v[14:15], s[2:3], v[2:3]
	v_fma_f64 v[6:7], v[6:7], -0.5, v[238:239]
	v_add_f64 v[14:15], v[136:137], -v[152:153]
	v_add_f64 v[2:3], v[238:239], v[118:119]
	v_fma_f64 v[10:11], v[14:15], s[14:15], v[6:7]
	v_fma_f64 v[6:7], v[14:15], s[12:13], v[6:7]
	v_add_f64 v[2:3], v[2:3], v[178:179]
	v_fma_f64 v[10:11], v[16:17], s[16:17], v[10:11]
	v_fma_f64 v[6:7], v[16:17], s[0:1], v[6:7]
	v_add_f64 v[2:3], v[2:3], v[120:121]
	v_add_f64 v[120:121], v[102:103], -v[104:105]
	v_fma_f64 v[10:11], v[18:19], s[2:3], v[10:11]
	v_fma_f64 v[6:7], v[18:19], s[2:3], v[6:7]
	v_add_f64 v[18:19], v[118:119], v[126:127]
	v_add_f64 v[118:119], v[96:97], -v[206:207]
	v_add_f64 v[2:3], v[2:3], v[126:127]
	v_fma_f64 v[18:19], v[18:19], -0.5, v[238:239]
	v_fma_f64 v[20:21], v[16:17], s[12:13], v[18:19]
	v_fma_f64 v[16:17], v[16:17], s[14:15], v[18:19]
	v_add_f64 v[18:19], v[124:125], v[128:129]
	v_fma_f64 v[20:21], v[14:15], s[16:17], v[20:21]
	v_fma_f64 v[14:15], v[14:15], s[0:1], v[16:17]
	v_fma_f64 v[18:19], v[18:19], -0.5, v[232:233]
	v_add_f64 v[16:17], v[232:233], v[122:123]
	v_fma_f64 v[178:179], v[22:23], s[2:3], v[20:21]
	v_fma_f64 v[14:15], v[22:23], s[2:3], v[14:15]
	v_add_f64 v[22:23], v[204:205], -v[68:69]
	v_add_f64 v[16:17], v[16:17], v[124:125]
	v_fma_f64 v[20:21], v[22:23], s[12:13], v[18:19]
	v_fma_f64 v[18:19], v[22:23], s[14:15], v[18:19]
	v_add_f64 v[16:17], v[16:17], v[128:129]
	v_fma_f64 v[20:21], v[26:27], s[0:1], v[20:21]
	v_fma_f64 v[18:19], v[26:27], s[16:17], v[18:19]
	;; [unrolled: 3-line block ×3, first 2 shown]
	v_add_f64 v[18:19], v[122:123], v[130:131]
	v_fma_f64 v[18:19], v[18:19], -0.5, v[232:233]
	v_fma_f64 v[28:29], v[26:27], s[14:15], v[18:19]
	v_fma_f64 v[18:19], v[26:27], s[12:13], v[18:19]
	;; [unrolled: 1-line block ×4, first 2 shown]
	v_add_f64 v[22:23], v[208:209], v[72:73]
	v_fma_f64 v[32:33], v[30:31], s[2:3], v[28:29]
	v_fma_f64 v[28:29], v[30:31], s[2:3], v[18:19]
	v_fma_f64 v[22:23], v[22:23], -0.5, v[234:235]
	v_add_f64 v[30:31], v[122:123], -v[130:131]
	v_add_f64 v[18:19], v[234:235], v[204:205]
	v_fma_f64 v[26:27], v[30:31], s[14:15], v[22:23]
	v_fma_f64 v[22:23], v[30:31], s[12:13], v[22:23]
	v_add_f64 v[18:19], v[18:19], v[208:209]
	v_fma_f64 v[26:27], v[36:37], s[16:17], v[26:27]
	v_fma_f64 v[22:23], v[36:37], s[0:1], v[22:23]
	v_add_f64 v[18:19], v[18:19], v[72:73]
	v_add_f64 v[72:73], v[54:55], -v[56:57]
	v_fma_f64 v[26:27], v[34:35], s[2:3], v[26:27]
	v_fma_f64 v[22:23], v[34:35], s[2:3], v[22:23]
	v_add_f64 v[34:35], v[204:205], v[68:69]
	v_add_f64 v[18:19], v[18:19], v[68:69]
	v_add_f64 v[68:69], v[64:65], -v[60:61]
	v_fma_f64 v[38:39], v[34:35], -0.5, v[234:235]
	v_add_f64 v[68:69], v[68:69], v[72:73]
	v_fma_f64 v[34:35], v[36:37], s[12:13], v[38:39]
	v_fma_f64 v[36:37], v[36:37], s[14:15], v[38:39]
	v_add_f64 v[38:39], v[114:115], v[116:117]
	v_fma_f64 v[34:35], v[30:31], s[16:17], v[34:35]
	v_fma_f64 v[30:31], v[30:31], s[0:1], v[36:37]
	v_fma_f64 v[38:39], v[38:39], -0.5, v[228:229]
	v_add_f64 v[36:37], v[228:229], v[112:113]
	v_fma_f64 v[34:35], v[40:41], s[2:3], v[34:35]
	v_fma_f64 v[30:31], v[40:41], s[2:3], v[30:31]
	;; [unrolled: 1-line block ×4, first 2 shown]
	v_add_f64 v[36:37], v[36:37], v[114:115]
	v_fma_f64 v[40:41], v[46:47], s[0:1], v[40:41]
	v_fma_f64 v[38:39], v[46:47], s[16:17], v[38:39]
	v_add_f64 v[36:37], v[36:37], v[116:117]
	v_fma_f64 v[44:45], v[48:49], s[2:3], v[40:41]
	v_fma_f64 v[40:41], v[48:49], s[2:3], v[38:39]
	v_add_f64 v[38:39], v[112:113], v[58:59]
	v_add_f64 v[36:37], v[36:37], v[58:59]
	v_fma_f64 v[38:39], v[38:39], -0.5, v[228:229]
	v_fma_f64 v[48:49], v[46:47], s[14:15], v[38:39]
	v_fma_f64 v[38:39], v[46:47], s[12:13], v[38:39]
	;; [unrolled: 1-line block ×4, first 2 shown]
	v_add_f64 v[42:43], v[60:61], v[56:57]
	v_fma_f64 v[52:53], v[50:51], s[2:3], v[48:49]
	v_fma_f64 v[48:49], v[50:51], s[2:3], v[38:39]
	v_fma_f64 v[42:43], v[42:43], -0.5, v[230:231]
	v_add_f64 v[50:51], v[112:113], -v[58:59]
	v_add_f64 v[58:59], v[114:115], -v[116:117]
	v_add_f64 v[38:39], v[230:231], v[64:65]
	v_add_f64 v[112:113], v[74:75], -v[88:89]
	v_add_f64 v[114:115], v[66:67], -v[62:63]
	;; [unrolled: 1-line block ×3, first 2 shown]
	v_fma_f64 v[46:47], v[50:51], s[14:15], v[42:43]
	v_fma_f64 v[42:43], v[50:51], s[12:13], v[42:43]
	v_add_f64 v[38:39], v[38:39], v[60:61]
	v_add_f64 v[60:61], v[60:61], -v[64:65]
	v_add_f64 v[114:115], v[114:115], v[116:117]
	v_add_f64 v[116:117], v[90:91], -v[88:89]
	v_fma_f64 v[46:47], v[58:59], s[16:17], v[46:47]
	v_fma_f64 v[42:43], v[58:59], s[0:1], v[42:43]
	v_add_f64 v[38:39], v[38:39], v[56:57]
	v_fma_f64 v[46:47], v[68:69], s[2:3], v[46:47]
	v_fma_f64 v[42:43], v[68:69], s[2:3], v[42:43]
	v_add_f64 v[68:69], v[64:65], v[54:55]
	v_add_f64 v[38:39], v[38:39], v[54:55]
	v_add_f64 v[54:55], v[56:57], -v[54:55]
	v_add_f64 v[64:65], v[62:63], -v[66:67]
	v_fma_f64 v[68:69], v[68:69], -0.5, v[230:231]
	v_add_f64 v[56:57], v[60:61], v[54:55]
	v_fma_f64 v[72:73], v[58:59], s[12:13], v[68:69]
	v_fma_f64 v[58:59], v[58:59], s[14:15], v[68:69]
	v_add_f64 v[68:69], v[70:71], -v[90:91]
	v_fma_f64 v[72:73], v[50:51], s[16:17], v[72:73]
	v_fma_f64 v[50:51], v[50:51], s[0:1], v[58:59]
	v_add_f64 v[58:59], v[66:67], v[106:107]
	v_fma_f64 v[54:55], v[56:57], s[2:3], v[72:73]
	v_add_f64 v[72:73], v[200:201], -v[106:107]
	v_fma_f64 v[58:59], v[58:59], -0.5, v[224:225]
	v_fma_f64 v[50:51], v[56:57], s[2:3], v[50:51]
	v_add_f64 v[56:57], v[224:225], v[62:63]
	v_add_f64 v[72:73], v[64:65], v[72:73]
	v_fma_f64 v[60:61], v[68:69], s[12:13], v[58:59]
	v_fma_f64 v[58:59], v[68:69], s[14:15], v[58:59]
	v_add_f64 v[56:57], v[56:57], v[66:67]
	v_fma_f64 v[60:61], v[112:113], s[0:1], v[60:61]
	v_fma_f64 v[58:59], v[112:113], s[16:17], v[58:59]
	v_add_f64 v[56:57], v[56:57], v[106:107]
	v_add_f64 v[106:107], v[66:67], -v[106:107]
	v_add_f64 v[66:67], v[70:71], -v[74:75]
	v_fma_f64 v[64:65], v[72:73], s[2:3], v[60:61]
	v_fma_f64 v[60:61], v[72:73], s[2:3], v[58:59]
	v_add_f64 v[58:59], v[62:63], v[200:201]
	v_add_f64 v[56:57], v[56:57], v[200:201]
	;; [unrolled: 1-line block ×3, first 2 shown]
	v_fma_f64 v[58:59], v[58:59], -0.5, v[224:225]
	v_fma_f64 v[72:73], v[112:113], s[14:15], v[58:59]
	v_fma_f64 v[58:59], v[112:113], s[12:13], v[58:59]
	v_add_f64 v[112:113], v[74:75], v[88:89]
	v_fma_f64 v[72:73], v[68:69], s[0:1], v[72:73]
	v_fma_f64 v[58:59], v[68:69], s[16:17], v[58:59]
	v_fma_f64 v[112:113], v[112:113], -0.5, v[226:227]
	v_fma_f64 v[72:73], v[114:115], s[2:3], v[72:73]
	v_fma_f64 v[68:69], v[114:115], s[2:3], v[58:59]
	v_add_f64 v[114:115], v[62:63], -v[200:201]
	v_add_f64 v[58:59], v[226:227], v[70:71]
	v_fma_f64 v[62:63], v[114:115], s[14:15], v[112:113]
	v_add_f64 v[58:59], v[58:59], v[74:75]
	v_fma_f64 v[62:63], v[106:107], s[16:17], v[62:63]
	;; [unrolled: 2-line block ×3, first 2 shown]
	v_fma_f64 v[62:63], v[114:115], s[12:13], v[112:113]
	v_add_f64 v[112:113], v[70:71], v[90:91]
	v_add_f64 v[58:59], v[58:59], v[90:91]
	v_add_f64 v[70:71], v[74:75], -v[70:71]
	v_add_f64 v[74:75], v[88:89], -v[90:91]
	v_add_f64 v[90:91], v[202:203], v[206:207]
	v_fma_f64 v[62:63], v[106:107], s[0:1], v[62:63]
	v_fma_f64 v[112:113], v[112:113], -0.5, v[226:227]
	v_add_f64 v[70:71], v[70:71], v[74:75]
	v_fma_f64 v[90:91], v[90:91], -0.5, v[220:221]
	v_fma_f64 v[62:63], v[116:117], s[2:3], v[62:63]
	v_fma_f64 v[116:117], v[106:107], s[12:13], v[112:113]
	;; [unrolled: 1-line block ×3, first 2 shown]
	v_add_f64 v[106:107], v[210:211], -v[76:77]
	v_fma_f64 v[116:117], v[114:115], s[16:17], v[116:117]
	v_fma_f64 v[88:89], v[114:115], s[0:1], v[88:89]
	;; [unrolled: 1-line block ×3, first 2 shown]
	v_add_f64 v[114:115], v[156:157], -v[214:215]
	v_fma_f64 v[90:91], v[106:107], s[14:15], v[90:91]
	v_fma_f64 v[74:75], v[70:71], s[2:3], v[116:117]
	v_add_f64 v[116:117], v[86:87], -v[202:203]
	v_fma_f64 v[70:71], v[70:71], s[2:3], v[88:89]
	v_fma_f64 v[112:113], v[114:115], s[0:1], v[112:113]
	;; [unrolled: 1-line block ×3, first 2 shown]
	v_add_f64 v[88:89], v[220:221], v[86:87]
	v_add_f64 v[116:117], v[116:117], v[118:119]
	v_add_f64 v[118:119], v[206:207], -v[96:97]
	v_add_f64 v[88:89], v[88:89], v[202:203]
	v_fma_f64 v[200:201], v[116:117], s[2:3], v[90:91]
	v_add_f64 v[90:91], v[86:87], v[96:97]
	v_fma_f64 v[204:205], v[116:117], s[2:3], v[112:113]
	v_add_f64 v[116:117], v[202:203], -v[86:87]
	v_add_f64 v[88:89], v[88:89], v[206:207]
	v_add_f64 v[86:87], v[86:87], -v[96:97]
	v_fma_f64 v[90:91], v[90:91], -0.5, v[220:221]
	v_add_f64 v[116:117], v[116:117], v[118:119]
	v_add_f64 v[88:89], v[88:89], v[96:97]
	v_add_f64 v[118:119], v[100:101], -v[98:99]
	v_fma_f64 v[112:113], v[114:115], s[14:15], v[90:91]
	v_fma_f64 v[90:91], v[114:115], s[12:13], v[90:91]
	v_add_f64 v[114:115], v[210:211], -v[156:157]
	v_add_f64 v[118:119], v[118:119], v[120:121]
	v_fma_f64 v[112:113], v[106:107], s[0:1], v[112:113]
	v_fma_f64 v[90:91], v[106:107], s[16:17], v[90:91]
	v_add_f64 v[106:107], v[156:157], v[214:215]
	v_fma_f64 v[220:221], v[116:117], s[2:3], v[112:113]
	v_fma_f64 v[208:209], v[116:117], s[2:3], v[90:91]
	v_fma_f64 v[106:107], v[106:107], -0.5, v[222:223]
	v_add_f64 v[112:113], v[202:203], -v[206:207]
	v_add_f64 v[116:117], v[76:77], -v[214:215]
	v_add_f64 v[90:91], v[222:223], v[210:211]
	v_fma_f64 v[96:97], v[86:87], s[14:15], v[106:107]
	v_add_f64 v[114:115], v[114:115], v[116:117]
	v_add_f64 v[90:91], v[90:91], v[156:157]
	v_add_f64 v[116:117], v[104:105], -v[102:103]
	v_fma_f64 v[96:97], v[112:113], s[16:17], v[96:97]
	v_add_f64 v[90:91], v[90:91], v[214:215]
	v_fma_f64 v[206:207], v[114:115], s[2:3], v[96:97]
	v_fma_f64 v[96:97], v[86:87], s[12:13], v[106:107]
	v_add_f64 v[90:91], v[90:91], v[76:77]
	v_fma_f64 v[96:97], v[112:113], s[0:1], v[96:97]
	v_fma_f64 v[202:203], v[114:115], s[2:3], v[96:97]
	v_add_f64 v[96:97], v[210:211], v[76:77]
	v_add_f64 v[114:115], v[156:157], -v[210:211]
	v_add_f64 v[76:77], v[214:215], -v[76:77]
	v_fma_f64 v[96:97], v[96:97], -0.5, v[222:223]
	v_add_f64 v[76:77], v[114:115], v[76:77]
	v_add_f64 v[114:115], v[98:99], -v[100:101]
	v_fma_f64 v[106:107], v[112:113], s[12:13], v[96:97]
	v_fma_f64 v[96:97], v[112:113], s[14:15], v[96:97]
	v_add_f64 v[114:115], v[114:115], v[116:117]
	v_fma_f64 v[106:107], v[86:87], s[16:17], v[106:107]
	v_fma_f64 v[86:87], v[86:87], s[0:1], v[96:97]
	;; [unrolled: 1-line block ×4, first 2 shown]
	v_add_f64 v[76:77], v[216:217], v[98:99]
	v_add_f64 v[86:87], v[78:79], -v[84:85]
	v_add_f64 v[106:107], v[80:81], -v[82:83]
	v_add_f64 v[76:77], v[76:77], v[100:101]
	v_add_f64 v[76:77], v[76:77], v[102:103]
	v_add_f64 v[112:113], v[76:77], v[104:105]
	v_add_f64 v[76:77], v[100:101], v[102:103]
	v_add_f64 v[100:101], v[100:101], -v[102:103]
	v_add_f64 v[102:103], v[78:79], -v[80:81]
	v_fma_f64 v[76:77], v[76:77], -0.5, v[216:217]
	v_fma_f64 v[96:97], v[86:87], s[12:13], v[76:77]
	v_fma_f64 v[76:77], v[86:87], s[14:15], v[76:77]
	;; [unrolled: 1-line block ×6, first 2 shown]
	v_add_f64 v[76:77], v[98:99], v[104:105]
	v_add_f64 v[104:105], v[98:99], -v[104:105]
	v_fma_f64 v[114:115], v[76:77], -0.5, v[216:217]
	v_fma_f64 v[76:77], v[106:107], s[14:15], v[114:115]
	v_fma_f64 v[106:107], v[106:107], s[12:13], v[114:115]
	;; [unrolled: 1-line block ×4, first 2 shown]
	v_add_f64 v[106:107], v[84:85], -v[82:83]
	v_fma_f64 v[76:77], v[118:119], s[2:3], v[76:77]
	v_fma_f64 v[120:121], v[118:119], s[2:3], v[86:87]
	v_add_f64 v[86:87], v[218:219], v[78:79]
	v_add_f64 v[102:103], v[102:103], v[106:107]
	;; [unrolled: 1-line block ×6, first 2 shown]
	v_fma_f64 v[86:87], v[86:87], -0.5, v[218:219]
	v_fma_f64 v[98:99], v[104:105], s[14:15], v[86:87]
	v_fma_f64 v[86:87], v[104:105], s[12:13], v[86:87]
	;; [unrolled: 1-line block ×6, first 2 shown]
	v_add_f64 v[86:87], v[78:79], v[84:85]
	v_add_f64 v[78:79], v[80:81], -v[78:79]
	v_add_f64 v[80:81], v[82:83], -v[84:85]
	v_fma_f64 v[86:87], v[86:87], -0.5, v[218:219]
	v_add_f64 v[80:81], v[78:79], v[80:81]
	v_fma_f64 v[102:103], v[100:101], s[12:13], v[86:87]
	v_fma_f64 v[82:83], v[100:101], s[14:15], v[86:87]
	s_mov_b32 s12, 0x5476071b
	s_mov_b32 s13, 0x3fe77f67
	;; [unrolled: 1-line block ×4, first 2 shown]
	v_fma_f64 v[102:103], v[104:105], s[16:17], v[102:103]
	v_fma_f64 v[82:83], v[104:105], s[0:1], v[82:83]
	s_mov_b32 s16, 0xb247c609
	s_mov_b32 s17, 0xbfd5d0dc
	;; [unrolled: 1-line block ×3, first 2 shown]
	v_fma_f64 v[78:79], v[80:81], s[2:3], v[102:103]
	v_fma_f64 v[122:123], v[80:81], s[2:3], v[82:83]
	ds_write_b128 v213, v[248:251] offset:1904
	ds_write_b128 v213, v[160:163] offset:3808
	;; [unrolled: 1-line block ×34, first 2 shown]
	v_lshlrev_b32_e32 v4, 4, v164
	s_waitcnt lgkmcnt(0)
	; wave barrier
	s_waitcnt lgkmcnt(0)
	global_load_dwordx4 v[9:12], v4, s[6:7]
	ds_read_b128 v[5:8], v212
	v_add_co_u32_e64 v2, s[0:1], s6, v4
	v_mov_b32_e32 v0, s7
	v_addc_co_u32_e64 v3, s[0:1], 0, v0, s[0:1]
	s_movk_i32 s0, 0x1000
	s_mov_b32 s2, 0x429ad128
	s_mov_b32 s3, 0xbfebfeb5
	s_waitcnt vmcnt(0) lgkmcnt(0)
	v_mul_f64 v[0:1], v[7:8], v[11:12]
	v_fma_f64 v[13:14], v[5:6], v[9:10], -v[0:1]
	v_mul_f64 v[0:1], v[5:6], v[11:12]
	v_fma_f64 v[15:16], v[7:8], v[9:10], v[0:1]
	global_load_dwordx4 v[9:12], v4, s[6:7] offset:1360
	ds_read_b128 v[5:8], v212 offset:1360
	ds_write_b128 v212, v[13:16]
	s_waitcnt vmcnt(0) lgkmcnt(1)
	v_mul_f64 v[0:1], v[7:8], v[11:12]
	v_fma_f64 v[13:14], v[5:6], v[9:10], -v[0:1]
	v_mul_f64 v[0:1], v[5:6], v[11:12]
	v_fma_f64 v[15:16], v[7:8], v[9:10], v[0:1]
	global_load_dwordx4 v[9:12], v4, s[6:7] offset:2720
	ds_read_b128 v[5:8], v212 offset:2720
	ds_write_b128 v212, v[13:16] offset:1360
	s_waitcnt vmcnt(0) lgkmcnt(1)
	v_mul_f64 v[0:1], v[7:8], v[11:12]
	v_fma_f64 v[13:14], v[5:6], v[9:10], -v[0:1]
	v_mul_f64 v[0:1], v[5:6], v[11:12]
	v_fma_f64 v[15:16], v[7:8], v[9:10], v[0:1]
	global_load_dwordx4 v[9:12], v4, s[6:7] offset:4080
	ds_read_b128 v[5:8], v212 offset:4080
	ds_write_b128 v212, v[13:16] offset:2720
	s_waitcnt vmcnt(0) lgkmcnt(1)
	v_mul_f64 v[0:1], v[7:8], v[11:12]
	v_fma_f64 v[13:14], v[5:6], v[9:10], -v[0:1]
	v_mul_f64 v[0:1], v[5:6], v[11:12]
	v_fma_f64 v[15:16], v[7:8], v[9:10], v[0:1]
	v_add_co_u32_e64 v0, s[0:1], s0, v2
	v_addc_co_u32_e64 v1, s[0:1], 0, v3, s[0:1]
	global_load_dwordx4 v[9:12], v[0:1], off offset:1344
	ds_read_b128 v[5:8], v212 offset:5440
	s_movk_i32 s0, 0x2000
	ds_write_b128 v212, v[13:16] offset:4080
	v_add_co_u32_e64 v2, s[0:1], s0, v2
	v_addc_co_u32_e64 v3, s[0:1], 0, v3, s[0:1]
	s_mov_b32 s0, 0x37c3f68c
	s_mov_b32 s1, 0xbfdc38aa
	s_waitcnt vmcnt(0) lgkmcnt(1)
	v_mul_f64 v[13:14], v[7:8], v[11:12]
	v_fma_f64 v[13:14], v[5:6], v[9:10], -v[13:14]
	v_mul_f64 v[5:6], v[5:6], v[11:12]
	v_fma_f64 v[15:16], v[7:8], v[9:10], v[5:6]
	global_load_dwordx4 v[9:12], v[0:1], off offset:2704
	ds_read_b128 v[5:8], v212 offset:6800
	ds_write_b128 v212, v[13:16] offset:5440
	s_waitcnt vmcnt(0) lgkmcnt(1)
	v_mul_f64 v[13:14], v[7:8], v[11:12]
	v_fma_f64 v[13:14], v[5:6], v[9:10], -v[13:14]
	v_mul_f64 v[5:6], v[5:6], v[11:12]
	v_fma_f64 v[15:16], v[7:8], v[9:10], v[5:6]
	global_load_dwordx4 v[9:12], v[0:1], off offset:4064
	ds_read_b128 v[5:8], v212 offset:8160
	ds_write_b128 v212, v[13:16] offset:6800
	s_waitcnt vmcnt(0) lgkmcnt(1)
	v_mul_f64 v[13:14], v[7:8], v[11:12]
	v_fma_f64 v[13:14], v[5:6], v[9:10], -v[13:14]
	v_mul_f64 v[5:6], v[5:6], v[11:12]
	v_fma_f64 v[15:16], v[7:8], v[9:10], v[5:6]
	global_load_dwordx4 v[9:12], v4, s[6:7] offset:272
	ds_read_b128 v[5:8], v212 offset:272
	ds_write_b128 v212, v[13:16] offset:8160
	s_waitcnt vmcnt(0) lgkmcnt(1)
	v_mul_f64 v[13:14], v[7:8], v[11:12]
	v_fma_f64 v[13:14], v[5:6], v[9:10], -v[13:14]
	v_mul_f64 v[5:6], v[5:6], v[11:12]
	v_fma_f64 v[15:16], v[7:8], v[9:10], v[5:6]
	global_load_dwordx4 v[9:12], v4, s[6:7] offset:1632
	;; [unrolled: 8-line block ×3, first 2 shown]
	ds_read_b128 v[5:8], v212 offset:2992
	ds_write_b128 v212, v[13:16] offset:1632
	s_waitcnt vmcnt(0) lgkmcnt(1)
	v_mul_f64 v[13:14], v[7:8], v[11:12]
	v_fma_f64 v[13:14], v[5:6], v[9:10], -v[13:14]
	v_mul_f64 v[5:6], v[5:6], v[11:12]
	v_fma_f64 v[15:16], v[7:8], v[9:10], v[5:6]
	global_load_dwordx4 v[9:12], v[0:1], off offset:256
	ds_read_b128 v[5:8], v212 offset:4352
	ds_write_b128 v212, v[13:16] offset:2992
	s_waitcnt vmcnt(0) lgkmcnt(1)
	v_mul_f64 v[13:14], v[7:8], v[11:12]
	v_fma_f64 v[13:14], v[5:6], v[9:10], -v[13:14]
	v_mul_f64 v[5:6], v[5:6], v[11:12]
	v_fma_f64 v[15:16], v[7:8], v[9:10], v[5:6]
	global_load_dwordx4 v[9:12], v[0:1], off offset:1616
	;; [unrolled: 8-line block ×4, first 2 shown]
	ds_read_b128 v[5:8], v212 offset:8432
	ds_write_b128 v212, v[13:16] offset:7072
	s_waitcnt vmcnt(0) lgkmcnt(1)
	v_mul_f64 v[13:14], v[7:8], v[11:12]
	v_fma_f64 v[13:14], v[5:6], v[9:10], -v[13:14]
	v_mul_f64 v[5:6], v[5:6], v[11:12]
	v_fma_f64 v[15:16], v[7:8], v[9:10], v[5:6]
	global_load_dwordx4 v[9:12], v4, s[6:7] offset:544
	ds_read_b128 v[5:8], v212 offset:544
	ds_write_b128 v212, v[13:16] offset:8432
	s_waitcnt vmcnt(0) lgkmcnt(1)
	v_mul_f64 v[13:14], v[7:8], v[11:12]
	v_fma_f64 v[13:14], v[5:6], v[9:10], -v[13:14]
	v_mul_f64 v[5:6], v[5:6], v[11:12]
	v_fma_f64 v[15:16], v[7:8], v[9:10], v[5:6]
	global_load_dwordx4 v[9:12], v4, s[6:7] offset:1904
	;; [unrolled: 8-line block ×3, first 2 shown]
	ds_read_b128 v[5:8], v212 offset:3264
	ds_write_b128 v212, v[13:16] offset:1904
	s_waitcnt vmcnt(0) lgkmcnt(1)
	v_mul_f64 v[13:14], v[7:8], v[11:12]
	v_fma_f64 v[13:14], v[5:6], v[9:10], -v[13:14]
	v_mul_f64 v[5:6], v[5:6], v[11:12]
	v_fma_f64 v[15:16], v[7:8], v[9:10], v[5:6]
	global_load_dwordx4 v[9:12], v[0:1], off offset:528
	ds_read_b128 v[5:8], v212 offset:4624
	ds_write_b128 v212, v[13:16] offset:3264
	s_waitcnt vmcnt(0) lgkmcnt(1)
	v_mul_f64 v[13:14], v[7:8], v[11:12]
	v_fma_f64 v[13:14], v[5:6], v[9:10], -v[13:14]
	v_mul_f64 v[5:6], v[5:6], v[11:12]
	v_fma_f64 v[15:16], v[7:8], v[9:10], v[5:6]
	global_load_dwordx4 v[9:12], v[0:1], off offset:1888
	;; [unrolled: 8-line block ×3, first 2 shown]
	ds_read_b128 v[5:8], v212 offset:7344
	ds_write_b128 v212, v[13:16] offset:5984
	s_waitcnt vmcnt(0) lgkmcnt(1)
	v_mul_f64 v[13:14], v[7:8], v[11:12]
	v_fma_f64 v[13:14], v[5:6], v[9:10], -v[13:14]
	v_mul_f64 v[5:6], v[5:6], v[11:12]
	v_fma_f64 v[15:16], v[7:8], v[9:10], v[5:6]
	buffer_load_dword v9, off, s[60:63], 0 offset:1412 ; 4-byte Folded Reload
	ds_read_b128 v[5:8], v212 offset:8704
	ds_write_b128 v212, v[13:16] offset:7344
	s_waitcnt vmcnt(0)
	global_load_dwordx4 v[9:12], v9, s[6:7]
	s_waitcnt vmcnt(0) lgkmcnt(1)
	v_mul_f64 v[13:14], v[7:8], v[11:12]
	v_fma_f64 v[13:14], v[5:6], v[9:10], -v[13:14]
	v_mul_f64 v[5:6], v[5:6], v[11:12]
	v_fma_f64 v[15:16], v[7:8], v[9:10], v[5:6]
	global_load_dwordx4 v[9:12], v4, s[6:7] offset:816
	ds_read_b128 v[5:8], v212 offset:816
	ds_write_b128 v212, v[13:16] offset:8704
	s_waitcnt vmcnt(0) lgkmcnt(1)
	v_mul_f64 v[13:14], v[7:8], v[11:12]
	v_fma_f64 v[13:14], v[5:6], v[9:10], -v[13:14]
	v_mul_f64 v[5:6], v[5:6], v[11:12]
	v_fma_f64 v[15:16], v[7:8], v[9:10], v[5:6]
	global_load_dwordx4 v[9:12], v4, s[6:7] offset:2176
	ds_read_b128 v[5:8], v212 offset:2176
	ds_write_b128 v212, v[13:16] offset:816
	;; [unrolled: 8-line block ×3, first 2 shown]
	s_waitcnt vmcnt(0) lgkmcnt(1)
	v_mul_f64 v[13:14], v[7:8], v[11:12]
	v_fma_f64 v[13:14], v[5:6], v[9:10], -v[13:14]
	v_mul_f64 v[5:6], v[5:6], v[11:12]
	v_fma_f64 v[15:16], v[7:8], v[9:10], v[5:6]
	global_load_dwordx4 v[9:12], v[0:1], off offset:800
	ds_read_b128 v[5:8], v212 offset:4896
	ds_write_b128 v212, v[13:16] offset:3536
	s_waitcnt vmcnt(0) lgkmcnt(1)
	v_mul_f64 v[13:14], v[7:8], v[11:12]
	v_fma_f64 v[13:14], v[5:6], v[9:10], -v[13:14]
	v_mul_f64 v[5:6], v[5:6], v[11:12]
	v_fma_f64 v[15:16], v[7:8], v[9:10], v[5:6]
	global_load_dwordx4 v[9:12], v[0:1], off offset:2160
	ds_read_b128 v[5:8], v212 offset:6256
	ds_write_b128 v212, v[13:16] offset:4896
	;; [unrolled: 8-line block ×4, first 2 shown]
	s_waitcnt vmcnt(0) lgkmcnt(1)
	v_mul_f64 v[13:14], v[7:8], v[11:12]
	v_fma_f64 v[13:14], v[5:6], v[9:10], -v[13:14]
	v_mul_f64 v[5:6], v[5:6], v[11:12]
	v_fma_f64 v[15:16], v[7:8], v[9:10], v[5:6]
	global_load_dwordx4 v[9:12], v4, s[6:7] offset:1088
	ds_read_b128 v[5:8], v212 offset:1088
	ds_write_b128 v212, v[13:16] offset:8976
	s_waitcnt vmcnt(0) lgkmcnt(1)
	v_mul_f64 v[13:14], v[7:8], v[11:12]
	v_fma_f64 v[13:14], v[5:6], v[9:10], -v[13:14]
	v_mul_f64 v[5:6], v[5:6], v[11:12]
	v_fma_f64 v[15:16], v[7:8], v[9:10], v[5:6]
	global_load_dwordx4 v[9:12], v4, s[6:7] offset:2448
	ds_read_b128 v[5:8], v212 offset:2448
	ds_write_b128 v212, v[13:16] offset:1088
	s_waitcnt vmcnt(0) lgkmcnt(1)
	v_mul_f64 v[13:14], v[7:8], v[11:12]
	v_fma_f64 v[13:14], v[5:6], v[9:10], -v[13:14]
	v_mul_f64 v[5:6], v[5:6], v[11:12]
	v_fma_f64 v[15:16], v[7:8], v[9:10], v[5:6]
	global_load_dwordx4 v[9:12], v4, s[6:7] offset:3808
	ds_read_b128 v[5:8], v212 offset:3808
	s_mov_b32 s6, 0x36b3c0b5
	s_mov_b32 s7, 0x3fac98ee
	ds_write_b128 v212, v[13:16] offset:2448
	s_waitcnt vmcnt(0) lgkmcnt(1)
	v_mul_f64 v[13:14], v[7:8], v[11:12]
	v_fma_f64 v[13:14], v[5:6], v[9:10], -v[13:14]
	v_mul_f64 v[4:5], v[5:6], v[11:12]
	v_fma_f64 v[15:16], v[7:8], v[9:10], v[4:5]
	global_load_dwordx4 v[8:11], v[0:1], off offset:1072
	ds_read_b128 v[4:7], v212 offset:5168
	ds_write_b128 v212, v[13:16] offset:3808
	s_waitcnt vmcnt(0) lgkmcnt(1)
	v_mul_f64 v[12:13], v[6:7], v[10:11]
	v_fma_f64 v[12:13], v[4:5], v[8:9], -v[12:13]
	v_mul_f64 v[4:5], v[4:5], v[10:11]
	v_fma_f64 v[14:15], v[6:7], v[8:9], v[4:5]
	global_load_dwordx4 v[8:11], v[0:1], off offset:2432
	ds_read_b128 v[4:7], v212 offset:6528
	;; [unrolled: 8-line block ×4, first 2 shown]
	ds_write_b128 v212, v[12:15] offset:7888
	s_waitcnt vmcnt(0) lgkmcnt(1)
	v_mul_f64 v[8:9], v[6:7], v[2:3]
	v_mul_f64 v[2:3], v[4:5], v[2:3]
	v_fma_f64 v[8:9], v[4:5], v[0:1], -v[8:9]
	v_fma_f64 v[10:11], v[6:7], v[0:1], v[2:3]
	ds_write_b128 v212, v[8:11] offset:9248
	s_waitcnt lgkmcnt(0)
	; wave barrier
	s_waitcnt lgkmcnt(0)
	ds_read_b128 v[76:79], v212
	ds_read_b128 v[80:83], v212 offset:1360
	ds_read_b128 v[84:87], v212 offset:2720
	;; [unrolled: 1-line block ×34, first 2 shown]
	s_waitcnt lgkmcnt(14)
	v_add_f64 v[116:117], v[80:81], v[112:113]
	v_add_f64 v[118:119], v[82:83], v[114:115]
	v_add_f64 v[80:81], v[80:81], -v[112:113]
	v_add_f64 v[82:83], v[82:83], -v[114:115]
	v_add_f64 v[112:113], v[84:85], v[104:105]
	v_add_f64 v[114:115], v[86:87], v[106:107]
	v_add_f64 v[84:85], v[84:85], -v[104:105]
	v_add_f64 v[86:87], v[86:87], -v[106:107]
	;; [unrolled: 4-line block ×4, first 2 shown]
	v_add_f64 v[116:117], v[116:117], -v[104:105]
	v_add_f64 v[118:119], v[118:119], -v[106:107]
	;; [unrolled: 1-line block ×4, first 2 shown]
	v_add_f64 v[124:125], v[96:97], v[84:85]
	v_add_f64 v[126:127], v[98:99], v[86:87]
	v_add_f64 v[128:129], v[96:97], -v[84:85]
	v_add_f64 v[130:131], v[98:99], -v[86:87]
	;; [unrolled: 1-line block ×4, first 2 shown]
	v_add_f64 v[100:101], v[104:105], v[100:101]
	v_add_f64 v[102:103], v[106:107], v[102:103]
	v_add_f64 v[96:97], v[80:81], -v[96:97]
	v_add_f64 v[98:99], v[82:83], -v[98:99]
	v_add_f64 v[80:81], v[124:125], v[80:81]
	v_add_f64 v[82:83], v[126:127], v[82:83]
	v_mul_f64 v[104:105], v[112:113], s[6:7]
	v_mul_f64 v[106:107], v[114:115], s[6:7]
	v_add_f64 v[220:221], v[76:77], v[100:101]
	v_add_f64 v[222:223], v[78:79], v[102:103]
	v_mul_f64 v[76:77], v[116:117], s[24:25]
	v_mul_f64 v[78:79], v[118:119], s[24:25]
	;; [unrolled: 1-line block ×6, first 2 shown]
	v_fma_f64 v[100:101], v[100:101], s[20:21], v[220:221]
	v_fma_f64 v[102:103], v[102:103], s[20:21], v[222:223]
	;; [unrolled: 1-line block ×4, first 2 shown]
	v_fma_f64 v[104:105], v[120:121], s[12:13], -v[104:105]
	v_fma_f64 v[106:107], v[122:123], s[12:13], -v[106:107]
	;; [unrolled: 1-line block ×4, first 2 shown]
	v_fma_f64 v[120:121], v[96:97], s[16:17], v[116:117]
	v_fma_f64 v[122:123], v[98:99], s[16:17], v[118:119]
	v_fma_f64 v[84:85], v[84:85], s[2:3], -v[116:117]
	v_fma_f64 v[86:87], v[86:87], s[2:3], -v[118:119]
	;; [unrolled: 1-line block ×4, first 2 shown]
	v_add_f64 v[112:113], v[112:113], v[100:101]
	v_add_f64 v[114:115], v[114:115], v[102:103]
	;; [unrolled: 1-line block ×6, first 2 shown]
	v_fma_f64 v[100:101], v[80:81], s[0:1], v[120:121]
	v_fma_f64 v[102:103], v[82:83], s[0:1], v[122:123]
	;; [unrolled: 1-line block ×6, first 2 shown]
	v_add_f64 v[96:97], v[8:9], v[176:177]
	v_add_f64 v[98:99], v[10:11], v[178:179]
	v_add_f64 v[246:247], v[114:115], -v[100:101]
	v_add_f64 v[244:245], v[112:113], v[102:103]
	v_add_f64 v[238:239], v[84:85], v[106:107]
	v_add_f64 v[236:237], v[104:105], -v[86:87]
	v_add_f64 v[242:243], v[78:79], -v[80:81]
	v_add_f64 v[240:241], v[76:77], v[82:83]
	v_add_f64 v[228:229], v[76:77], -v[82:83]
	v_add_f64 v[230:231], v[80:81], v[78:79]
	v_add_f64 v[76:77], v[4:5], v[252:253]
	;; [unrolled: 1-line block ×6, first 2 shown]
	v_add_f64 v[234:235], v[106:107], -v[84:85]
	v_add_f64 v[224:225], v[112:113], -v[102:103]
	v_add_f64 v[226:227], v[100:101], v[114:115]
	v_add_f64 v[84:85], v[160:161], -v[248:249]
	v_add_f64 v[86:87], v[162:163], -v[250:251]
	;; [unrolled: 1-line block ×4, first 2 shown]
	v_add_f64 v[100:101], v[80:81], v[76:77]
	v_add_f64 v[102:103], v[82:83], v[78:79]
	v_add_f64 v[4:5], v[4:5], -v[252:253]
	v_add_f64 v[6:7], v[6:7], -v[254:255]
	;; [unrolled: 1-line block ×10, first 2 shown]
	v_add_f64 v[96:97], v[96:97], v[100:101]
	v_add_f64 v[98:99], v[98:99], v[102:103]
	v_add_f64 v[112:113], v[8:9], v[84:85]
	v_add_f64 v[114:115], v[10:11], v[86:87]
	v_add_f64 v[84:85], v[84:85], -v[4:5]
	v_add_f64 v[86:87], v[86:87], -v[6:7]
	v_mul_f64 v[100:101], v[116:117], s[22:23]
	v_mul_f64 v[102:103], v[118:119], s[22:23]
	v_add_f64 v[160:161], v[0:1], v[96:97]
	v_add_f64 v[162:163], v[2:3], v[98:99]
	v_mul_f64 v[0:1], v[76:77], s[24:25]
	v_mul_f64 v[2:3], v[78:79], s[24:25]
	v_mul_f64 v[76:77], v[80:81], s[6:7]
	v_mul_f64 v[78:79], v[82:83], s[6:7]
	v_add_f64 v[8:9], v[4:5], -v[8:9]
	v_add_f64 v[10:11], v[6:7], -v[10:11]
	v_add_f64 v[4:5], v[112:113], v[4:5]
	v_add_f64 v[6:7], v[114:115], v[6:7]
	v_mul_f64 v[112:113], v[84:85], s[2:3]
	v_mul_f64 v[114:115], v[86:87], s[2:3]
	v_fma_f64 v[96:97], v[96:97], s[20:21], v[160:161]
	v_fma_f64 v[98:99], v[98:99], s[20:21], v[162:163]
	;; [unrolled: 1-line block ×4, first 2 shown]
	v_fma_f64 v[76:77], v[104:105], s[12:13], -v[76:77]
	v_fma_f64 v[78:79], v[106:107], s[12:13], -v[78:79]
	;; [unrolled: 1-line block ×6, first 2 shown]
	v_add_f64 v[80:81], v[80:81], v[96:97]
	v_add_f64 v[82:83], v[82:83], v[98:99]
	;; [unrolled: 1-line block ×6, first 2 shown]
	v_fma_f64 v[2:3], v[4:5], s[0:1], v[84:85]
	v_fma_f64 v[0:1], v[6:7], s[0:1], v[86:87]
	;; [unrolled: 1-line block ×4, first 2 shown]
	v_fma_f64 v[8:9], v[8:9], s[18:19], -v[112:113]
	v_fma_f64 v[10:11], v[10:11], s[18:19], -v[114:115]
	s_waitcnt lgkmcnt(0)
	; wave barrier
	s_waitcnt lgkmcnt(0)
	v_add_f64 v[178:179], v[2:3], v[78:79]
	v_add_f64 v[176:177], v[76:77], -v[0:1]
	v_add_f64 v[0:1], v[76:77], v[0:1]
	v_add_f64 v[2:3], v[78:79], -v[2:3]
	v_add_f64 v[76:77], v[20:21], v[36:37]
	v_add_f64 v[78:79], v[22:23], v[38:39]
	v_add_f64 v[20:21], v[20:21], -v[36:37]
	v_add_f64 v[22:23], v[22:23], -v[38:39]
	v_add_f64 v[36:37], v[16:17], v[32:33]
	v_add_f64 v[38:39], v[18:19], v[34:35]
	v_fma_f64 v[100:101], v[4:5], s[0:1], v[104:105]
	v_fma_f64 v[102:103], v[6:7], s[0:1], v[106:107]
	;; [unrolled: 1-line block ×4, first 2 shown]
	v_add_f64 v[16:17], v[16:17], -v[32:33]
	v_add_f64 v[18:19], v[18:19], -v[34:35]
	v_add_f64 v[32:33], v[24:25], v[28:29]
	v_add_f64 v[34:35], v[26:27], v[30:31]
	v_add_f64 v[24:25], v[28:29], -v[24:25]
	v_add_f64 v[26:27], v[30:31], -v[26:27]
	v_add_f64 v[28:29], v[36:37], v[76:77]
	v_add_f64 v[30:31], v[38:39], v[78:79]
	;; [unrolled: 1-line block ×3, first 2 shown]
	v_add_f64 v[10:11], v[82:83], -v[100:101]
	v_add_f64 v[4:5], v[96:97], v[86:87]
	v_add_f64 v[6:7], v[98:99], -v[84:85]
	v_add_f64 v[252:253], v[96:97], -v[86:87]
	v_add_f64 v[254:255], v[84:85], v[98:99]
	v_add_f64 v[248:249], v[80:81], -v[102:103]
	v_add_f64 v[250:251], v[100:101], v[82:83]
	v_add_f64 v[80:81], v[36:37], -v[76:77]
	v_add_f64 v[82:83], v[38:39], -v[78:79]
	;; [unrolled: 1-line block ×6, first 2 shown]
	v_add_f64 v[84:85], v[24:25], v[16:17]
	v_add_f64 v[86:87], v[26:27], v[18:19]
	v_add_f64 v[96:97], v[24:25], -v[16:17]
	v_add_f64 v[98:99], v[26:27], -v[18:19]
	v_add_f64 v[28:29], v[32:33], v[28:29]
	v_add_f64 v[30:31], v[34:35], v[30:31]
	v_add_f64 v[24:25], v[20:21], -v[24:25]
	v_add_f64 v[26:27], v[22:23], -v[26:27]
	;; [unrolled: 1-line block ×4, first 2 shown]
	v_add_f64 v[20:21], v[84:85], v[20:21]
	v_add_f64 v[22:23], v[86:87], v[22:23]
	;; [unrolled: 1-line block ×4, first 2 shown]
	v_mul_f64 v[32:33], v[76:77], s[24:25]
	v_mul_f64 v[34:35], v[78:79], s[24:25]
	;; [unrolled: 1-line block ×8, first 2 shown]
	v_fma_f64 v[28:29], v[28:29], s[20:21], v[12:13]
	v_fma_f64 v[30:31], v[30:31], s[20:21], v[14:15]
	v_fma_f64 v[76:77], v[80:81], s[12:13], -v[76:77]
	v_fma_f64 v[78:79], v[82:83], s[12:13], -v[78:79]
	;; [unrolled: 1-line block ×4, first 2 shown]
	v_fma_f64 v[36:37], v[36:37], s[6:7], v[32:33]
	v_fma_f64 v[38:39], v[38:39], s[6:7], v[34:35]
	v_fma_f64 v[32:33], v[80:81], s[14:15], -v[32:33]
	v_fma_f64 v[34:35], v[82:83], s[14:15], -v[34:35]
	v_fma_f64 v[80:81], v[24:25], s[16:17], v[84:85]
	v_fma_f64 v[82:83], v[26:27], s[16:17], v[86:87]
	v_fma_f64 v[24:25], v[24:25], s[18:19], -v[96:97]
	v_fma_f64 v[26:27], v[26:27], s[18:19], -v[98:99]
	v_add_f64 v[76:77], v[76:77], v[28:29]
	v_add_f64 v[78:79], v[78:79], v[30:31]
	v_fma_f64 v[16:17], v[20:21], s[0:1], v[16:17]
	v_fma_f64 v[18:19], v[22:23], s[0:1], v[18:19]
	v_add_f64 v[84:85], v[36:37], v[28:29]
	v_add_f64 v[86:87], v[38:39], v[30:31]
	;; [unrolled: 1-line block ×4, first 2 shown]
	v_fma_f64 v[80:81], v[20:21], s[0:1], v[80:81]
	v_fma_f64 v[100:101], v[20:21], s[0:1], v[24:25]
	;; [unrolled: 1-line block ×3, first 2 shown]
	v_add_f64 v[28:29], v[76:77], -v[18:19]
	v_add_f64 v[30:31], v[16:17], v[78:79]
	v_add_f64 v[24:25], v[76:77], v[18:19]
	v_add_f64 v[26:27], v[78:79], -v[16:17]
	v_add_f64 v[76:77], v[44:45], v[64:65]
	v_add_f64 v[78:79], v[46:47], v[66:67]
	v_add_f64 v[44:45], v[44:45], -v[64:65]
	v_add_f64 v[46:47], v[46:47], -v[66:67]
	v_add_f64 v[64:65], v[52:53], v[60:61]
	v_add_f64 v[66:67], v[54:55], v[62:63]
	v_fma_f64 v[82:83], v[22:23], s[0:1], v[82:83]
	v_add_f64 v[52:53], v[52:53], -v[60:61]
	v_add_f64 v[54:55], v[54:55], -v[62:63]
	v_add_f64 v[60:61], v[48:49], v[56:57]
	v_add_f64 v[62:63], v[50:51], v[58:59]
	v_add_f64 v[48:49], v[56:57], -v[48:49]
	v_add_f64 v[50:51], v[58:59], -v[50:51]
	v_add_f64 v[56:57], v[64:65], v[76:77]
	v_add_f64 v[58:59], v[66:67], v[78:79]
	;; [unrolled: 1-line block ×3, first 2 shown]
	v_add_f64 v[38:39], v[86:87], -v[80:81]
	v_add_f64 v[32:33], v[96:97], v[20:21]
	v_add_f64 v[34:35], v[98:99], -v[100:101]
	v_add_f64 v[20:21], v[96:97], -v[20:21]
	v_add_f64 v[22:23], v[100:101], v[98:99]
	v_add_f64 v[16:17], v[84:85], -v[82:83]
	v_add_f64 v[18:19], v[80:81], v[86:87]
	v_add_f64 v[80:81], v[64:65], -v[76:77]
	v_add_f64 v[82:83], v[66:67], -v[78:79]
	;; [unrolled: 1-line block ×6, first 2 shown]
	v_add_f64 v[84:85], v[48:49], v[52:53]
	v_add_f64 v[86:87], v[50:51], v[54:55]
	v_add_f64 v[96:97], v[48:49], -v[52:53]
	v_add_f64 v[98:99], v[50:51], -v[54:55]
	;; [unrolled: 1-line block ×4, first 2 shown]
	v_add_f64 v[56:57], v[60:61], v[56:57]
	v_add_f64 v[58:59], v[62:63], v[58:59]
	v_add_f64 v[48:49], v[44:45], -v[48:49]
	v_add_f64 v[50:51], v[46:47], -v[50:51]
	v_add_f64 v[44:45], v[84:85], v[44:45]
	v_add_f64 v[46:47], v[86:87], v[46:47]
	v_mul_f64 v[60:61], v[76:77], s[24:25]
	v_mul_f64 v[62:63], v[78:79], s[24:25]
	v_add_f64 v[40:41], v[40:41], v[56:57]
	v_add_f64 v[42:43], v[42:43], v[58:59]
	v_mul_f64 v[76:77], v[64:65], s[6:7]
	v_mul_f64 v[78:79], v[66:67], s[6:7]
	;; [unrolled: 1-line block ×6, first 2 shown]
	v_fma_f64 v[56:57], v[56:57], s[20:21], v[40:41]
	v_fma_f64 v[58:59], v[58:59], s[20:21], v[42:43]
	;; [unrolled: 1-line block ×4, first 2 shown]
	v_fma_f64 v[76:77], v[80:81], s[12:13], -v[76:77]
	v_fma_f64 v[78:79], v[82:83], s[12:13], -v[78:79]
	;; [unrolled: 1-line block ×4, first 2 shown]
	v_fma_f64 v[80:81], v[48:49], s[16:17], v[84:85]
	v_fma_f64 v[82:83], v[50:51], s[16:17], v[86:87]
	v_fma_f64 v[52:53], v[52:53], s[2:3], -v[84:85]
	v_fma_f64 v[54:55], v[54:55], s[2:3], -v[86:87]
	;; [unrolled: 1-line block ×4, first 2 shown]
	v_add_f64 v[84:85], v[64:65], v[56:57]
	v_add_f64 v[96:97], v[60:61], v[56:57]
	;; [unrolled: 1-line block ×3, first 2 shown]
	v_fma_f64 v[80:81], v[44:45], s[0:1], v[80:81]
	v_fma_f64 v[82:83], v[46:47], s[0:1], v[82:83]
	;; [unrolled: 1-line block ×6, first 2 shown]
	v_add_f64 v[86:87], v[66:67], v[58:59]
	v_add_f64 v[76:77], v[76:77], v[56:57]
	;; [unrolled: 1-line block ×4, first 2 shown]
	v_add_f64 v[62:63], v[98:99], -v[44:45]
	v_add_f64 v[60:61], v[96:97], v[46:47]
	v_add_f64 v[48:49], v[96:97], -v[46:47]
	v_add_f64 v[50:51], v[44:45], v[98:99]
	;; [unrolled: 2-line block ×3, first 2 shown]
	v_add_f64 v[96:97], v[200:201], v[204:205]
	v_add_f64 v[66:67], v[86:87], -v[80:81]
	v_add_f64 v[56:57], v[76:77], -v[52:53]
	v_add_f64 v[58:59], v[100:101], v[78:79]
	v_add_f64 v[52:53], v[76:77], v[52:53]
	v_add_f64 v[54:55], v[78:79], -v[100:101]
	v_add_f64 v[46:47], v[80:81], v[86:87]
	v_add_f64 v[86:87], v[70:71], v[210:211]
	;; [unrolled: 1-line block ×3, first 2 shown]
	v_add_f64 v[80:81], v[200:201], -v[204:205]
	v_add_f64 v[82:83], v[202:203], -v[206:207]
	v_add_f64 v[78:79], v[72:73], v[88:89]
	v_add_f64 v[76:77], v[74:75], v[90:91]
	v_add_f64 v[72:73], v[88:89], -v[72:73]
	v_add_f64 v[74:75], v[90:91], -v[74:75]
	v_add_f64 v[88:89], v[96:97], v[84:85]
	v_add_f64 v[68:69], v[68:69], -v[208:209]
	v_add_f64 v[70:71], v[70:71], -v[210:211]
	;; [unrolled: 3-line block ×3, first 2 shown]
	v_add_f64 v[84:85], v[84:85], -v[78:79]
	v_add_f64 v[86:87], v[86:87], -v[76:77]
	;; [unrolled: 1-line block ×4, first 2 shown]
	v_add_f64 v[104:105], v[72:73], v[80:81]
	v_add_f64 v[106:107], v[74:75], v[82:83]
	v_add_f64 v[114:115], v[74:75], -v[82:83]
	v_add_f64 v[78:79], v[78:79], v[88:89]
	v_add_f64 v[112:113], v[72:73], -v[80:81]
	v_add_f64 v[72:73], v[68:69], -v[72:73]
	;; [unrolled: 1-line block ×4, first 2 shown]
	v_add_f64 v[76:77], v[76:77], v[90:91]
	v_add_f64 v[88:89], v[104:105], v[68:69]
	;; [unrolled: 1-line block ×4, first 2 shown]
	v_mul_f64 v[84:85], v[84:85], s[24:25]
	v_mul_f64 v[86:87], v[86:87], s[24:25]
	;; [unrolled: 1-line block ×7, first 2 shown]
	v_fma_f64 v[78:79], v[78:79], s[20:21], v[68:69]
	v_fma_f64 v[96:97], v[96:97], s[6:7], v[84:85]
	;; [unrolled: 1-line block ×3, first 2 shown]
	v_fma_f64 v[106:107], v[102:103], s[12:13], -v[106:107]
	v_fma_f64 v[86:87], v[102:103], s[14:15], -v[86:87]
	v_fma_f64 v[102:103], v[74:75], s[16:17], v[114:115]
	v_fma_f64 v[104:105], v[100:101], s[12:13], -v[104:105]
	v_fma_f64 v[84:85], v[100:101], s[14:15], -v[84:85]
	v_fma_f64 v[100:101], v[72:73], s[16:17], v[112:113]
	v_fma_f64 v[72:73], v[72:73], s[18:19], -v[116:117]
	v_add_f64 v[96:97], v[96:97], v[78:79]
	v_add_f64 v[82:83], v[82:83], -v[70:71]
	v_add_f64 v[70:71], v[218:219], v[76:77]
	v_fma_f64 v[102:103], v[90:91], s[0:1], v[102:103]
	v_fma_f64 v[80:81], v[80:81], s[2:3], -v[112:113]
	v_add_f64 v[112:113], v[84:85], v[78:79]
	v_fma_f64 v[100:101], v[88:89], s[0:1], v[100:101]
	v_fma_f64 v[116:117], v[88:89], s[0:1], v[72:73]
	v_add_f64 v[104:105], v[104:105], v[78:79]
	v_mul_f64 v[118:119], v[82:83], s[2:3]
	v_fma_f64 v[76:77], v[76:77], s[20:21], v[70:71]
	v_add_f64 v[72:73], v[96:97], v[102:103]
	v_add_f64 v[216:217], v[96:97], -v[102:103]
	buffer_load_dword v96, off, s[60:63], 0 offset:868 ; 4-byte Folded Reload
	s_waitcnt vmcnt(0)
	ds_write_b128 v96, v[220:223]
	ds_write_b128 v96, v[244:247] offset:16
	ds_write_b128 v96, v[240:243] offset:32
	ds_write_b128 v96, v[236:239] offset:48
	ds_write_b128 v96, v[232:235] offset:64
	ds_write_b128 v96, v[228:231] offset:80
	ds_write_b128 v96, v[224:227] offset:96
	buffer_load_dword v96, off, s[60:63], 0 offset:876 ; 4-byte Folded Reload
	s_waitcnt vmcnt(0)
	ds_write_b128 v96, v[160:163]
	ds_write_b128 v96, v[8:11] offset:16
	ds_write_b128 v96, v[4:7] offset:32
	ds_write_b128 v96, v[176:179] offset:48
	ds_write_b128 v96, v[0:3] offset:64
	ds_write_b128 v96, v[252:255] offset:80
	ds_write_b128 v96, v[248:251] offset:96
	;; [unrolled: 9-line block ×4, first 2 shown]
	buffer_load_dword v0, off, s[60:63], 0 offset:896 ; 4-byte Folded Reload
	v_fma_f64 v[74:75], v[74:75], s[18:19], -v[118:119]
	v_fma_f64 v[82:83], v[82:83], s[2:3], -v[114:115]
	v_add_f64 v[98:99], v[98:99], v[76:77]
	v_add_f64 v[114:115], v[86:87], v[76:77]
	v_fma_f64 v[86:87], v[88:89], s[0:1], v[80:81]
	v_add_f64 v[106:107], v[106:107], v[76:77]
	v_fma_f64 v[88:89], v[90:91], s[0:1], v[74:75]
	v_fma_f64 v[84:85], v[90:91], s[0:1], v[82:83]
	v_add_f64 v[74:75], v[98:99], -v[100:101]
	v_add_f64 v[78:79], v[114:115], -v[116:117]
	v_add_f64 v[90:91], v[116:117], v[114:115]
	v_add_f64 v[82:83], v[86:87], v[106:107]
	v_add_f64 v[86:87], v[106:107], -v[86:87]
	v_add_f64 v[218:219], v[100:101], v[98:99]
	v_add_f64 v[76:77], v[112:113], v[88:89]
	v_add_f64 v[80:81], v[104:105], -v[84:85]
	v_add_f64 v[84:85], v[104:105], v[84:85]
	v_add_f64 v[88:89], v[112:113], -v[88:89]
	s_waitcnt vmcnt(0)
	ds_write_b128 v0, v[68:71]
	ds_write_b128 v0, v[72:75] offset:16
	ds_write_b128 v0, v[76:79] offset:32
	;; [unrolled: 1-line block ×6, first 2 shown]
	s_waitcnt lgkmcnt(0)
	; wave barrier
	s_waitcnt lgkmcnt(0)
	ds_read_b128 v[4:7], v212
	ds_read_b128 v[252:255], v212 offset:560
	ds_read_b128 v[248:251], v212 offset:1120
	;; [unrolled: 1-line block ×33, first 2 shown]
	s_and_saveexec_b64 s[0:1], vcc
	s_cbranch_execz .LBB0_7
; %bb.6:
	ds_read_b128 v[216:219], v212 offset:544
	ds_read_b128 v[76:79], v196 offset:1104
	s_waitcnt lgkmcnt(0)
	buffer_store_dword v76, off, s[60:63], 0 offset:20 ; 4-byte Folded Spill
	s_nop 0
	buffer_store_dword v77, off, s[60:63], 0 offset:24 ; 4-byte Folded Spill
	buffer_store_dword v78, off, s[60:63], 0 offset:28 ; 4-byte Folded Spill
	buffer_store_dword v79, off, s[60:63], 0 offset:32 ; 4-byte Folded Spill
	ds_read_b128 v[76:79], v196 offset:1664
	s_waitcnt lgkmcnt(0)
	buffer_store_dword v76, off, s[60:63], 0 offset:36 ; 4-byte Folded Spill
	s_nop 0
	buffer_store_dword v77, off, s[60:63], 0 offset:40 ; 4-byte Folded Spill
	buffer_store_dword v78, off, s[60:63], 0 offset:44 ; 4-byte Folded Spill
	buffer_store_dword v79, off, s[60:63], 0 offset:48 ; 4-byte Folded Spill
	;; [unrolled: 7-line block ×16, first 2 shown]
.LBB0_7:
	s_or_b64 exec, exec, s[0:1]
	buffer_load_dword v78, off, s[60:63], 0 offset:996 ; 4-byte Folded Reload
	buffer_load_dword v79, off, s[60:63], 0 offset:1000 ; 4-byte Folded Reload
	;; [unrolled: 1-line block ×4, first 2 shown]
	s_mov_b32 s2, 0x5d8e7cdc
	s_mov_b32 s0, 0x370991
	;; [unrolled: 1-line block ×46, first 2 shown]
	v_add_u32_e32 v199, 0x440, v212
	v_add_u32_e32 v198, 0x550, v212
	;; [unrolled: 1-line block ×3, first 2 shown]
	s_waitcnt vmcnt(0) lgkmcnt(14)
	v_mul_f64 v[76:77], v[80:81], v[254:255]
	v_fma_f64 v[164:165], v[78:79], v[252:253], v[76:77]
	v_mul_f64 v[76:77], v[80:81], v[252:253]
	v_fma_f64 v[166:167], v[78:79], v[254:255], -v[76:77]
	buffer_load_dword v78, off, s[60:63], 0 offset:948 ; 4-byte Folded Reload
	buffer_load_dword v79, off, s[60:63], 0 offset:952 ; 4-byte Folded Reload
	;; [unrolled: 1-line block ×4, first 2 shown]
	v_add_u32_e32 v255, 0x220, v212
	s_waitcnt vmcnt(0)
	v_mul_f64 v[76:77], v[80:81], v[250:251]
	v_fma_f64 v[152:153], v[78:79], v[248:249], v[76:77]
	v_mul_f64 v[76:77], v[80:81], v[248:249]
	v_fma_f64 v[154:155], v[78:79], v[250:251], -v[76:77]
	buffer_load_dword v78, off, s[60:63], 0 offset:916 ; 4-byte Folded Reload
	buffer_load_dword v79, off, s[60:63], 0 offset:920 ; 4-byte Folded Reload
	;; [unrolled: 1-line block ×4, first 2 shown]
	s_waitcnt vmcnt(0)
	v_mul_f64 v[76:77], v[80:81], v[246:247]
	v_fma_f64 v[144:145], v[78:79], v[244:245], v[76:77]
	v_mul_f64 v[76:77], v[80:81], v[244:245]
	v_fma_f64 v[146:147], v[78:79], v[246:247], -v[76:77]
	buffer_load_dword v78, off, s[60:63], 0 offset:900 ; 4-byte Folded Reload
	buffer_load_dword v79, off, s[60:63], 0 offset:904 ; 4-byte Folded Reload
	;; [unrolled: 1-line block ×4, first 2 shown]
	s_waitcnt vmcnt(0)
	v_mul_f64 v[76:77], v[80:81], v[242:243]
	v_fma_f64 v[128:129], v[78:79], v[240:241], v[76:77]
	v_mul_f64 v[76:77], v[80:81], v[240:241]
	v_add_u32_e32 v240, 0x330, v212
	v_fma_f64 v[136:137], v[78:79], v[242:243], -v[76:77]
	buffer_load_dword v78, off, s[60:63], 0 offset:1092 ; 4-byte Folded Reload
	buffer_load_dword v79, off, s[60:63], 0 offset:1096 ; 4-byte Folded Reload
	;; [unrolled: 1-line block ×4, first 2 shown]
	s_waitcnt vmcnt(0)
	v_mul_f64 v[76:77], v[80:81], v[238:239]
	v_fma_f64 v[122:123], v[78:79], v[236:237], v[76:77]
	v_mul_f64 v[76:77], v[80:81], v[236:237]
	buffer_load_dword v80, off, s[60:63], 0 offset:980 ; 4-byte Folded Reload
	buffer_load_dword v81, off, s[60:63], 0 offset:984 ; 4-byte Folded Reload
	;; [unrolled: 1-line block ×16, first 2 shown]
	v_fma_f64 v[126:127], v[78:79], v[238:239], -v[76:77]
	s_waitcnt vmcnt(12)
	v_mul_f64 v[76:77], v[82:83], v[234:235]
	v_mul_f64 v[78:79], v[82:83], v[232:233]
	s_waitcnt vmcnt(4)
	v_mul_f64 v[82:83], v[86:87], v[224:225]
	v_fma_f64 v[116:117], v[80:81], v[232:233], v[76:77]
	v_fma_f64 v[118:119], v[80:81], v[234:235], -v[78:79]
	v_mul_f64 v[76:77], v[98:99], v[230:231]
	v_mul_f64 v[78:79], v[98:99], v[228:229]
	;; [unrolled: 1-line block ×3, first 2 shown]
	v_fma_f64 v[98:99], v[84:85], v[226:227], -v[82:83]
	v_fma_f64 v[104:105], v[96:97], v[228:229], v[76:77]
	v_fma_f64 v[106:107], v[96:97], v[230:231], -v[78:79]
	v_fma_f64 v[96:97], v[84:85], v[224:225], v[80:81]
	buffer_load_dword v84, off, s[60:63], 0 offset:1156 ; 4-byte Folded Reload
	buffer_load_dword v85, off, s[60:63], 0 offset:1160 ; 4-byte Folded Reload
	;; [unrolled: 1-line block ×12, first 2 shown]
	s_waitcnt vmcnt(12)
	v_mul_f64 v[76:77], v[114:115], v[210:211]
	v_mul_f64 v[78:79], v[114:115], v[208:209]
	buffer_load_dword v180, off, s[60:63], 0 offset:1108 ; 4-byte Folded Reload
	buffer_load_dword v181, off, s[60:63], 0 offset:1112 ; 4-byte Folded Reload
	buffer_load_dword v182, off, s[60:63], 0 offset:1116 ; 4-byte Folded Reload
	buffer_load_dword v183, off, s[60:63], 0 offset:1120 ; 4-byte Folded Reload
	v_fma_f64 v[100:101], v[112:113], v[208:209], v[76:77]
	v_fma_f64 v[102:103], v[112:113], v[210:211], -v[78:79]
	s_waitcnt vmcnt(12)
	v_mul_f64 v[80:81], v[86:87], v[206:207]
	v_mul_f64 v[82:83], v[86:87], v[204:205]
	s_waitcnt vmcnt(8)
	v_mul_f64 v[76:77], v[174:175], v[202:203]
	v_mul_f64 v[78:79], v[174:175], v[200:201]
	s_waitcnt vmcnt(4)
	v_mul_f64 v[86:87], v[170:171], v[176:177]
	s_waitcnt vmcnt(0)
	v_mul_f64 v[148:149], v[182:183], v[162:163]
	v_mul_f64 v[150:151], v[182:183], v[160:161]
	v_fma_f64 v[112:113], v[84:85], v[204:205], v[80:81]
	v_mul_f64 v[80:81], v[170:171], v[178:179]
	v_fma_f64 v[120:121], v[172:173], v[200:201], v[76:77]
	v_fma_f64 v[124:125], v[172:173], v[202:203], -v[78:79]
	v_fma_f64 v[138:139], v[168:169], v[178:179], -v[86:87]
	v_fma_f64 v[114:115], v[84:85], v[206:207], -v[82:83]
	v_add_f64 v[82:83], v[4:5], v[164:165]
	v_add_f64 v[84:85], v[6:7], v[166:167]
	v_fma_f64 v[148:149], v[180:181], v[160:161], v[148:149]
	v_fma_f64 v[130:131], v[168:169], v[176:177], v[80:81]
	buffer_load_dword v176, off, s[60:63], 0 offset:1076 ; 4-byte Folded Reload
	buffer_load_dword v177, off, s[60:63], 0 offset:1080 ; 4-byte Folded Reload
	;; [unrolled: 1-line block ×12, first 2 shown]
	v_fma_f64 v[150:151], v[180:181], v[162:163], -v[150:151]
	v_add_f64 v[76:77], v[82:83], v[152:153]
	v_add_f64 v[78:79], v[84:85], v[154:155]
	;; [unrolled: 1-line block ×4, first 2 shown]
	s_waitcnt vmcnt(8)
	v_mul_f64 v[80:81], v[178:179], v[66:67]
	v_mul_f64 v[82:83], v[178:179], v[64:65]
	s_waitcnt vmcnt(4)
	v_mul_f64 v[84:85], v[174:175], v[62:63]
	v_mul_f64 v[86:87], v[174:175], v[60:61]
	;; [unrolled: 3-line block ×3, first 2 shown]
	v_fma_f64 v[241:242], v[176:177], v[64:65], v[80:81]
	v_fma_f64 v[243:244], v[176:177], v[66:67], -v[82:83]
	v_fma_f64 v[60:61], v[172:173], v[60:61], v[84:85]
	v_fma_f64 v[62:63], v[172:173], v[62:63], -v[86:87]
	;; [unrolled: 2-line block ×3, first 2 shown]
	buffer_load_dword v176, off, s[60:63], 0 offset:1204 ; 4-byte Folded Reload
	buffer_load_dword v177, off, s[60:63], 0 offset:1208 ; 4-byte Folded Reload
	;; [unrolled: 1-line block ×12, first 2 shown]
	v_add_f64 v[64:65], v[76:77], v[128:129]
	v_add_f64 v[66:67], v[78:79], v[136:137]
	;; [unrolled: 1-line block ×6, first 2 shown]
	v_mul_f64 v[238:239], v[253:254], s[6:7]
	v_add_f64 v[84:85], v[84:85], v[118:119]
	v_add_f64 v[84:85], v[84:85], v[106:107]
	s_waitcnt vmcnt(8)
	v_mul_f64 v[78:79], v[178:179], v[88:89]
	s_waitcnt vmcnt(4)
	v_mul_f64 v[80:81], v[174:175], v[70:71]
	v_mul_f64 v[86:87], v[174:175], v[68:69]
	s_waitcnt vmcnt(0) lgkmcnt(13)
	v_mul_f64 v[160:161], v[170:171], v[72:73]
	v_mul_f64 v[76:77], v[178:179], v[90:91]
	;; [unrolled: 1-line block ×3, first 2 shown]
	v_fma_f64 v[66:67], v[176:177], v[90:91], -v[78:79]
	v_fma_f64 v[80:81], v[172:173], v[68:69], v[80:81]
	v_add_f64 v[68:69], v[82:83], v[116:117]
	v_fma_f64 v[82:83], v[172:173], v[70:71], -v[86:87]
	v_fma_f64 v[78:79], v[168:169], v[74:75], -v[160:161]
	buffer_load_dword v160, off, s[60:63], 0 offset:1124 ; 4-byte Folded Reload
	buffer_load_dword v161, off, s[60:63], 0 offset:1128 ; 4-byte Folded Reload
	buffer_load_dword v162, off, s[60:63], 0 offset:1132 ; 4-byte Folded Reload
	buffer_load_dword v163, off, s[60:63], 0 offset:1136 ; 4-byte Folded Reload
	buffer_load_dword v172, off, s[60:63], 0 offset:1268 ; 4-byte Folded Reload
	buffer_load_dword v173, off, s[60:63], 0 offset:1272 ; 4-byte Folded Reload
	buffer_load_dword v174, off, s[60:63], 0 offset:1276 ; 4-byte Folded Reload
	buffer_load_dword v175, off, s[60:63], 0 offset:1280 ; 4-byte Folded Reload
	v_fma_f64 v[64:65], v[176:177], v[88:89], v[76:77]
	v_fma_f64 v[76:77], v[168:169], v[72:73], v[156:157]
	buffer_load_dword v168, off, s[60:63], 0 offset:1252 ; 4-byte Folded Reload
	buffer_load_dword v169, off, s[60:63], 0 offset:1256 ; 4-byte Folded Reload
	;; [unrolled: 1-line block ×4, first 2 shown]
	v_add_f64 v[68:69], v[68:69], v[104:105]
	s_waitcnt vmcnt(8) lgkmcnt(12)
	v_mul_f64 v[70:71], v[162:163], v[54:55]
	v_mul_f64 v[72:73], v[162:163], v[52:53]
	s_waitcnt vmcnt(4) lgkmcnt(11)
	v_mul_f64 v[74:75], v[174:175], v[46:47]
	v_mul_f64 v[86:87], v[174:175], v[44:45]
	;; [unrolled: 3-line block ×3, first 2 shown]
	v_fma_f64 v[228:229], v[160:161], v[52:53], v[70:71]
	v_fma_f64 v[230:231], v[160:161], v[54:55], -v[72:73]
	v_fma_f64 v[208:209], v[172:173], v[44:45], v[74:75]
	v_add_f64 v[52:53], v[84:85], v[98:99]
	v_fma_f64 v[210:211], v[172:173], v[46:47], -v[86:87]
	buffer_load_dword v72, off, s[60:63], 0 offset:1236 ; 4-byte Folded Reload
	buffer_load_dword v73, off, s[60:63], 0 offset:1240 ; 4-byte Folded Reload
	;; [unrolled: 1-line block ×8, first 2 shown]
	v_fma_f64 v[200:201], v[168:169], v[48:49], v[88:89]
	v_fma_f64 v[202:203], v[168:169], v[50:51], -v[90:91]
	v_add_f64 v[44:45], v[68:69], v[96:97]
	v_add_f64 v[52:53], v[52:53], v[102:103]
	;; [unrolled: 1-line block ×3, first 2 shown]
	s_waitcnt vmcnt(4) lgkmcnt(9)
	v_mul_f64 v[46:47], v[74:75], v[42:43]
	s_waitcnt vmcnt(0) lgkmcnt(8)
	v_mul_f64 v[50:51], v[86:87], v[34:35]
	v_mul_f64 v[54:55], v[86:87], v[32:33]
	buffer_load_dword v86, off, s[60:63], 0 offset:1348 ; 4-byte Folded Reload
	buffer_load_dword v87, off, s[60:63], 0 offset:1352 ; 4-byte Folded Reload
	;; [unrolled: 1-line block ×4, first 2 shown]
	v_mul_f64 v[48:49], v[74:75], v[40:41]
	v_fma_f64 v[160:161], v[72:73], v[40:41], v[46:47]
	v_add_f64 v[40:41], v[52:53], v[114:115]
	v_fma_f64 v[162:163], v[72:73], v[42:43], -v[48:49]
	v_fma_f64 v[72:73], v[84:85], v[32:33], v[50:51]
	v_add_f64 v[32:33], v[44:45], v[112:113]
	v_add_f64 v[40:41], v[40:41], v[124:125]
	;; [unrolled: 1-line block ×3, first 2 shown]
	s_waitcnt vmcnt(0) lgkmcnt(7)
	v_mul_f64 v[68:69], v[88:89], v[38:39]
	v_mul_f64 v[70:71], v[88:89], v[36:37]
	v_fma_f64 v[88:89], v[84:85], v[34:35], -v[54:55]
	v_fma_f64 v[74:75], v[86:87], v[36:37], v[68:69]
	v_fma_f64 v[90:91], v[86:87], v[38:39], -v[70:71]
	buffer_load_dword v68, off, s[60:63], 0 offset:1316 ; 4-byte Folded Reload
	buffer_load_dword v69, off, s[60:63], 0 offset:1320 ; 4-byte Folded Reload
	;; [unrolled: 1-line block ×12, first 2 shown]
	s_waitcnt vmcnt(8) lgkmcnt(6)
	v_mul_f64 v[34:35], v[70:71], v[30:31]
	s_waitcnt vmcnt(4) lgkmcnt(5)
	v_mul_f64 v[42:43], v[54:55], v[20:21]
	;; [unrolled: 2-line block ×3, first 2 shown]
	v_mul_f64 v[46:47], v[50:51], v[24:25]
	v_mul_f64 v[36:37], v[70:71], v[28:29]
	;; [unrolled: 1-line block ×3, first 2 shown]
	v_fma_f64 v[176:177], v[68:69], v[28:29], v[34:35]
	v_add_f64 v[28:29], v[40:41], v[138:139]
	v_fma_f64 v[206:207], v[52:53], v[22:23], -v[42:43]
	v_fma_f64 v[224:225], v[48:49], v[24:25], v[44:45]
	v_fma_f64 v[226:227], v[48:49], v[26:27], -v[46:47]
	buffer_load_dword v44, off, s[60:63], 0 offset:1396 ; 4-byte Folded Reload
	buffer_load_dword v45, off, s[60:63], 0 offset:1400 ; 4-byte Folded Reload
	;; [unrolled: 1-line block ×8, first 2 shown]
	v_fma_f64 v[178:179], v[68:69], v[30:31], -v[36:37]
	v_fma_f64 v[204:205], v[52:53], v[20:21], v[38:39]
	buffer_load_dword v36, off, s[60:63], 0 offset:1364 ; 4-byte Folded Reload
	buffer_load_dword v37, off, s[60:63], 0 offset:1368 ; 4-byte Folded Reload
	;; [unrolled: 1-line block ×4, first 2 shown]
	v_add_f64 v[28:29], v[28:29], v[150:151]
	v_add_f64 v[20:21], v[32:33], v[130:131]
	;; [unrolled: 1-line block ×3, first 2 shown]
	s_waitcnt vmcnt(8) lgkmcnt(3)
	v_mul_f64 v[22:23], v[46:47], v[18:19]
	s_waitcnt vmcnt(4) lgkmcnt(2)
	v_mul_f64 v[30:31], v[42:43], v[8:9]
	v_mul_f64 v[24:25], v[46:47], v[16:17]
	;; [unrolled: 1-line block ×3, first 2 shown]
	s_waitcnt vmcnt(0) lgkmcnt(1)
	v_mul_f64 v[34:35], v[38:39], v[12:13]
	v_mul_f64 v[32:33], v[38:39], v[14:15]
	v_fma_f64 v[232:233], v[44:45], v[16:17], v[22:23]
	v_add_f64 v[16:17], v[28:29], v[243:244]
	v_fma_f64 v[214:215], v[40:41], v[10:11], -v[30:31]
	buffer_load_dword v28, off, s[60:63], 0 offset:1332 ; 4-byte Folded Reload
	buffer_load_dword v29, off, s[60:63], 0 offset:1336 ; 4-byte Folded Reload
	;; [unrolled: 1-line block ×4, first 2 shown]
	v_fma_f64 v[234:235], v[44:45], v[18:19], -v[24:25]
	v_fma_f64 v[156:157], v[40:41], v[8:9], v[26:27]
	v_add_f64 v[8:9], v[20:21], v[241:242]
	v_fma_f64 v[86:87], v[36:37], v[14:15], -v[34:35]
	v_add_f64 v[14:15], v[166:167], -v[58:59]
	v_add_f64 v[18:19], v[166:167], v[58:59]
	v_fma_f64 v[84:85], v[36:37], v[12:13], v[32:33]
	v_add_f64 v[16:17], v[16:17], v[62:63]
	v_add_f64 v[20:21], v[164:165], v[56:57]
	v_add_f64 v[22:23], v[164:165], -v[56:57]
	v_add_f64 v[8:9], v[8:9], v[60:61]
	v_add_f64 v[62:63], v[154:155], -v[62:63]
	v_mul_f64 v[24:25], v[14:15], s[2:3]
	v_mul_f64 v[26:27], v[18:19], s[0:1]
	;; [unrolled: 1-line block ×12, first 2 shown]
	v_fma_f64 v[249:250], v[20:21], s[28:29], v[166:167]
	v_fma_f64 v[166:167], v[20:21], s[28:29], -v[166:167]
	v_add_f64 v[60:61], v[152:153], -v[60:61]
	v_mul_f64 v[152:153], v[62:63], s[12:13]
	v_fma_f64 v[36:37], v[20:21], s[14:15], v[32:33]
	v_fma_f64 v[38:39], v[22:23], s[42:43], v[34:35]
	v_fma_f64 v[32:33], v[20:21], s[14:15], -v[32:33]
	v_fma_f64 v[34:35], v[22:23], s[16:17], v[34:35]
	v_fma_f64 v[42:43], v[20:21], s[18:19], v[40:41]
	v_fma_f64 v[50:51], v[22:23], s[54:55], v[44:45]
	v_fma_f64 v[40:41], v[20:21], s[18:19], -v[40:41]
	v_fma_f64 v[44:45], v[22:23], s[22:23], v[44:45]
	;; [unrolled: 4-line block ×3, first 2 shown]
	v_fma_f64 v[251:252], v[22:23], s[46:47], v[245:246]
	v_fma_f64 v[245:246], v[22:23], s[36:37], v[245:246]
	v_add_f64 v[36:37], v[4:5], v[36:37]
	v_add_f64 v[38:39], v[6:7], v[38:39]
	;; [unrolled: 1-line block ×14, first 2 shown]
	v_fma_f64 v[170:171], v[60:61], s[48:49], v[238:239]
	s_waitcnt lgkmcnt(0)
	; wave barrier
	s_waitcnt vmcnt(0) lgkmcnt(0)
	v_mul_f64 v[10:11], v[30:31], v[2:3]
	v_mul_f64 v[12:13], v[30:31], v[0:1]
	v_fma_f64 v[52:53], v[28:29], v[0:1], v[10:11]
	v_fma_f64 v[54:55], v[28:29], v[2:3], -v[12:13]
	v_add_f64 v[0:1], v[8:9], v[56:57]
	v_add_f64 v[2:3], v[16:17], v[58:59]
	v_fma_f64 v[8:9], v[20:21], s[0:1], v[24:25]
	v_fma_f64 v[10:11], v[22:23], s[40:41], v[26:27]
	v_fma_f64 v[12:13], v[20:21], s[0:1], -v[24:25]
	v_fma_f64 v[16:17], v[22:23], s[2:3], v[26:27]
	v_mul_f64 v[24:25], v[14:15], s[12:13]
	v_mul_f64 v[26:27], v[18:19], s[6:7]
	;; [unrolled: 1-line block ×4, first 2 shown]
	v_add_f64 v[8:9], v[4:5], v[8:9]
	v_fma_f64 v[56:57], v[20:21], s[20:21], v[46:47]
	v_fma_f64 v[58:59], v[22:23], s[44:45], v[48:49]
	v_fma_f64 v[46:47], v[20:21], s[20:21], -v[46:47]
	v_fma_f64 v[28:29], v[20:21], s[6:7], v[24:25]
	v_fma_f64 v[30:31], v[22:23], s[48:49], v[26:27]
	v_fma_f64 v[24:25], v[20:21], s[6:7], -v[24:25]
	v_fma_f64 v[26:27], v[22:23], s[12:13], v[26:27]
	v_fma_f64 v[48:49], v[22:23], s[26:27], v[48:49]
	;; [unrolled: 1-line block ×4, first 2 shown]
	v_fma_f64 v[14:15], v[20:21], s[34:35], -v[14:15]
	v_fma_f64 v[18:19], v[22:23], s[38:39], v[18:19]
	v_add_f64 v[20:21], v[4:5], v[166:167]
	v_fma_f64 v[166:167], v[236:237], s[6:7], v[152:153]
	v_add_f64 v[10:11], v[6:7], v[10:11]
	v_add_f64 v[12:13], v[4:5], v[12:13]
	;; [unrolled: 1-line block ×16, first 2 shown]
	v_mul_f64 v[14:15], v[62:63], s[22:23]
	v_mul_f64 v[18:19], v[253:254], s[18:19]
	v_add_f64 v[8:9], v[166:167], v[8:9]
	v_fma_f64 v[166:167], v[60:61], s[12:13], v[238:239]
	v_mul_f64 v[238:239], v[253:254], s[24:25]
	v_add_f64 v[10:11], v[170:171], v[10:11]
	v_fma_f64 v[152:153], v[236:237], s[6:7], -v[152:153]
	v_mul_f64 v[170:171], v[62:63], s[30:31]
	v_fma_f64 v[245:246], v[236:237], s[18:19], v[14:15]
	v_fma_f64 v[172:173], v[60:61], s[54:55], v[18:19]
	v_fma_f64 v[14:15], v[236:237], s[18:19], -v[14:15]
	v_fma_f64 v[18:19], v[60:61], s[22:23], v[18:19]
	v_add_f64 v[16:17], v[166:167], v[16:17]
	v_fma_f64 v[166:167], v[60:61], s[52:53], v[238:239]
	v_add_f64 v[12:13], v[152:153], v[12:13]
	;; [unrolled: 2-line block ×3, first 2 shown]
	v_add_f64 v[30:31], v[172:173], v[30:31]
	v_add_f64 v[14:15], v[14:15], v[24:25]
	;; [unrolled: 1-line block ×3, first 2 shown]
	v_mul_f64 v[24:25], v[62:63], s[38:39]
	v_mul_f64 v[26:27], v[253:254], s[34:35]
	v_add_f64 v[38:39], v[166:167], v[38:39]
	v_fma_f64 v[166:167], v[60:61], s[30:31], v[238:239]
	v_mul_f64 v[172:173], v[253:254], s[28:29]
	v_add_f64 v[36:37], v[152:153], v[36:37]
	v_fma_f64 v[152:153], v[236:237], s[24:25], -v[170:171]
	v_mul_f64 v[170:171], v[62:63], s[46:47]
	v_fma_f64 v[174:175], v[236:237], s[34:35], v[24:25]
	v_fma_f64 v[238:239], v[60:61], s[50:51], v[26:27]
	v_fma_f64 v[24:25], v[236:237], s[34:35], -v[24:25]
	v_fma_f64 v[26:27], v[60:61], s[38:39], v[26:27]
	v_add_f64 v[34:35], v[166:167], v[34:35]
	v_fma_f64 v[166:167], v[60:61], s[36:37], v[172:173]
	v_add_f64 v[32:33], v[152:153], v[32:33]
	v_fma_f64 v[152:153], v[236:237], s[28:29], v[170:171]
	v_fma_f64 v[172:173], v[60:61], s[46:47], v[172:173]
	v_add_f64 v[42:43], v[174:175], v[42:43]
	v_add_f64 v[24:25], v[24:25], v[40:41]
	;; [unrolled: 1-line block ×3, first 2 shown]
	v_mul_f64 v[40:41], v[62:63], s[44:45]
	v_mul_f64 v[44:45], v[253:254], s[20:21]
	v_add_f64 v[58:59], v[166:167], v[58:59]
	v_mul_f64 v[166:167], v[253:254], s[14:15]
	v_add_f64 v[50:51], v[238:239], v[50:51]
	v_add_f64 v[56:57], v[152:153], v[56:57]
	v_mul_f64 v[152:153], v[62:63], s[42:43]
	v_add_f64 v[48:49], v[172:173], v[48:49]
	v_fma_f64 v[174:175], v[236:237], s[20:21], v[40:41]
	v_fma_f64 v[238:239], v[60:61], s[26:27], v[44:45]
	;; [unrolled: 1-line block ×4, first 2 shown]
	v_add_f64 v[172:173], v[146:147], -v[243:244]
	v_fma_f64 v[170:171], v[236:237], s[28:29], -v[170:171]
	v_fma_f64 v[245:246], v[236:237], s[14:15], v[152:153]
	v_add_f64 v[146:147], v[146:147], v[243:244]
	v_add_f64 v[70:71], v[174:175], v[70:71]
	v_mul_f64 v[174:175], v[253:254], s[0:1]
	v_add_f64 v[44:45], v[44:45], v[164:165]
	v_add_f64 v[164:165], v[180:181], v[251:252]
	v_fma_f64 v[152:153], v[236:237], s[14:15], -v[152:153]
	v_add_f64 v[180:181], v[144:145], v[241:242]
	v_mul_f64 v[182:183], v[172:173], s[16:17]
	v_add_f64 v[46:47], v[170:171], v[46:47]
	v_add_f64 v[170:171], v[238:239], v[247:248]
	v_mul_f64 v[62:63], v[62:63], s[40:41]
	v_fma_f64 v[166:167], v[60:61], s[42:43], v[166:167]
	v_add_f64 v[144:145], v[144:145], -v[241:242]
	v_mul_f64 v[238:239], v[146:147], s[14:15]
	v_fma_f64 v[243:244], v[60:61], s[2:3], v[174:175]
	v_fma_f64 v[60:61], v[60:61], s[40:41], v[174:175]
	v_add_f64 v[20:21], v[152:153], v[20:21]
	v_fma_f64 v[152:153], v[180:181], s[14:15], v[182:183]
	v_fma_f64 v[241:242], v[236:237], s[0:1], v[62:63]
	v_fma_f64 v[62:63], v[236:237], s[0:1], -v[62:63]
	v_add_f64 v[22:23], v[166:167], v[22:23]
	v_fma_f64 v[166:167], v[144:145], s[42:43], v[238:239]
	v_mul_f64 v[174:175], v[172:173], s[50:51]
	v_add_f64 v[6:7], v[60:61], v[6:7]
	v_mul_f64 v[60:61], v[172:173], s[30:31]
	v_add_f64 v[8:9], v[152:153], v[8:9]
	v_fma_f64 v[152:153], v[180:181], s[14:15], -v[182:183]
	v_fma_f64 v[40:41], v[236:237], s[20:21], -v[40:41]
	v_add_f64 v[4:5], v[62:63], v[4:5]
	v_mul_f64 v[62:63], v[146:147], s[24:25]
	v_add_f64 v[10:11], v[166:167], v[10:11]
	v_fma_f64 v[166:167], v[144:145], s[16:17], v[238:239]
	v_mul_f64 v[182:183], v[146:147], s[34:35]
	v_fma_f64 v[236:237], v[180:181], s[24:25], v[60:61]
	v_fma_f64 v[60:61], v[180:181], s[24:25], -v[60:61]
	v_add_f64 v[12:13], v[152:153], v[12:13]
	v_fma_f64 v[152:153], v[180:181], s[34:35], v[174:175]
	v_fma_f64 v[238:239], v[144:145], s[52:53], v[62:63]
	;; [unrolled: 1-line block ×3, first 2 shown]
	v_add_f64 v[16:17], v[166:167], v[16:17]
	v_fma_f64 v[166:167], v[144:145], s[38:39], v[182:183]
	v_add_f64 v[28:29], v[236:237], v[28:29]
	v_add_f64 v[14:15], v[60:61], v[14:15]
	v_mul_f64 v[60:61], v[172:173], s[44:45]
	v_add_f64 v[36:37], v[152:153], v[36:37]
	v_fma_f64 v[152:153], v[180:181], s[34:35], -v[174:175]
	v_mul_f64 v[174:175], v[172:173], s[48:49]
	v_add_f64 v[18:19], v[62:63], v[18:19]
	v_mul_f64 v[62:63], v[146:147], s[20:21]
	v_add_f64 v[38:39], v[166:167], v[38:39]
	v_fma_f64 v[166:167], v[144:145], s[50:51], v[182:183]
	v_mul_f64 v[182:183], v[146:147], s[6:7]
	v_fma_f64 v[236:237], v[180:181], s[20:21], v[60:61]
	v_fma_f64 v[60:61], v[180:181], s[20:21], -v[60:61]
	v_add_f64 v[32:33], v[152:153], v[32:33]
	v_fma_f64 v[152:153], v[180:181], s[6:7], v[174:175]
	v_add_f64 v[30:31], v[238:239], v[30:31]
	v_fma_f64 v[238:239], v[144:145], s[26:27], v[62:63]
	v_fma_f64 v[62:63], v[144:145], s[44:45], v[62:63]
	v_add_f64 v[34:35], v[166:167], v[34:35]
	v_fma_f64 v[166:167], v[144:145], s[12:13], v[182:183]
	v_add_f64 v[24:25], v[60:61], v[24:25]
	v_mul_f64 v[60:61], v[172:173], s[2:3]
	v_add_f64 v[56:57], v[152:153], v[56:57]
	v_mul_f64 v[152:153], v[172:173], s[22:23]
	v_add_f64 v[40:41], v[40:41], v[68:69]
	v_add_f64 v[68:69], v[245:246], v[249:250]
	;; [unrolled: 1-line block ×5, first 2 shown]
	v_mul_f64 v[62:63], v[146:147], s[0:1]
	v_add_f64 v[58:59], v[166:167], v[58:59]
	v_mul_f64 v[166:167], v[146:147], s[18:19]
	v_fma_f64 v[236:237], v[180:181], s[0:1], v[60:61]
	v_fma_f64 v[60:61], v[180:181], s[0:1], -v[60:61]
	v_fma_f64 v[241:242], v[180:181], s[18:19], v[152:153]
	v_add_f64 v[168:169], v[243:244], v[168:169]
	v_add_f64 v[50:51], v[238:239], v[50:51]
	v_fma_f64 v[182:183], v[144:145], s[48:49], v[182:183]
	v_fma_f64 v[238:239], v[144:145], s[40:41], v[62:63]
	;; [unrolled: 1-line block ×4, first 2 shown]
	v_add_f64 v[40:41], v[60:61], v[40:41]
	v_add_f64 v[60:61], v[241:242], v[68:69]
	v_add_f64 v[68:69], v[136:137], -v[150:151]
	v_add_f64 v[136:137], v[136:137], v[150:151]
	v_mul_f64 v[146:147], v[146:147], s[28:29]
	v_fma_f64 v[174:175], v[180:181], s[6:7], -v[174:175]
	v_add_f64 v[48:49], v[182:183], v[48:49]
	v_add_f64 v[44:45], v[62:63], v[44:45]
	;; [unrolled: 1-line block ×3, first 2 shown]
	v_mul_f64 v[150:151], v[172:173], s[36:37]
	v_fma_f64 v[152:153], v[180:181], s[18:19], -v[152:153]
	v_fma_f64 v[164:165], v[144:145], s[22:23], v[166:167]
	v_add_f64 v[166:167], v[128:129], v[148:149]
	v_add_f64 v[128:129], v[128:129], -v[148:149]
	v_mul_f64 v[148:149], v[68:69], s[22:23]
	v_mul_f64 v[172:173], v[136:137], s[18:19]
	v_fma_f64 v[182:183], v[144:145], s[46:47], v[146:147]
	v_fma_f64 v[144:145], v[144:145], s[36:37], v[146:147]
	v_add_f64 v[46:47], v[174:175], v[46:47]
	v_fma_f64 v[174:175], v[180:181], s[28:29], v[150:151]
	v_fma_f64 v[150:151], v[180:181], s[28:29], -v[150:151]
	v_add_f64 v[20:21], v[152:153], v[20:21]
	v_fma_f64 v[146:147], v[166:167], s[18:19], v[148:149]
	v_fma_f64 v[152:153], v[128:129], s[54:55], v[172:173]
	v_add_f64 v[22:23], v[164:165], v[22:23]
	v_add_f64 v[6:7], v[144:145], v[6:7]
	v_mul_f64 v[144:145], v[68:69], s[38:39]
	v_add_f64 v[154:155], v[174:175], v[154:155]
	v_add_f64 v[4:5], v[150:151], v[4:5]
	v_mul_f64 v[150:151], v[136:137], s[34:35]
	v_add_f64 v[8:9], v[146:147], v[8:9]
	v_add_f64 v[10:11], v[152:153], v[10:11]
	v_fma_f64 v[146:147], v[166:167], s[18:19], -v[148:149]
	v_fma_f64 v[148:149], v[128:129], s[22:23], v[172:173]
	v_mul_f64 v[152:153], v[68:69], s[44:45]
	v_fma_f64 v[172:173], v[166:167], s[34:35], v[144:145]
	v_fma_f64 v[144:145], v[166:167], s[34:35], -v[144:145]
	v_add_f64 v[164:165], v[182:183], v[168:169]
	v_mul_f64 v[168:169], v[136:137], s[20:21]
	v_fma_f64 v[174:175], v[128:129], s[50:51], v[150:151]
	v_fma_f64 v[150:151], v[128:129], s[38:39], v[150:151]
	v_add_f64 v[12:13], v[146:147], v[12:13]
	v_fma_f64 v[146:147], v[166:167], s[20:21], v[152:153]
	v_add_f64 v[16:17], v[148:149], v[16:17]
	v_add_f64 v[14:15], v[144:145], v[14:15]
	v_mul_f64 v[144:145], v[68:69], s[40:41]
	v_fma_f64 v[148:149], v[128:129], s[26:27], v[168:169]
	v_add_f64 v[28:29], v[172:173], v[28:29]
	v_add_f64 v[18:19], v[150:151], v[18:19]
	v_mul_f64 v[150:151], v[136:137], s[0:1]
	v_add_f64 v[36:37], v[146:147], v[36:37]
	v_fma_f64 v[146:147], v[166:167], s[20:21], -v[152:153]
	v_mul_f64 v[152:153], v[68:69], s[16:17]
	v_fma_f64 v[172:173], v[166:167], s[0:1], v[144:145]
	v_fma_f64 v[144:145], v[166:167], s[0:1], -v[144:145]
	v_add_f64 v[30:31], v[174:175], v[30:31]
	v_add_f64 v[38:39], v[148:149], v[38:39]
	v_fma_f64 v[148:149], v[128:129], s[44:45], v[168:169]
	v_mul_f64 v[168:169], v[136:137], s[14:15]
	v_fma_f64 v[174:175], v[128:129], s[2:3], v[150:151]
	v_fma_f64 v[150:151], v[128:129], s[40:41], v[150:151]
	v_add_f64 v[32:33], v[146:147], v[32:33]
	v_fma_f64 v[146:147], v[166:167], s[14:15], v[152:153]
	v_add_f64 v[24:25], v[144:145], v[24:25]
	v_mul_f64 v[144:145], v[68:69], s[36:37]
	v_add_f64 v[34:35], v[148:149], v[34:35]
	v_fma_f64 v[148:149], v[128:129], s[42:43], v[168:169]
	v_add_f64 v[42:43], v[172:173], v[42:43]
	v_add_f64 v[26:27], v[150:151], v[26:27]
	v_mul_f64 v[150:151], v[136:137], s[28:29]
	v_add_f64 v[56:57], v[146:147], v[56:57]
	v_mul_f64 v[146:147], v[68:69], s[52:53]
	v_fma_f64 v[168:169], v[128:129], s[16:17], v[168:169]
	v_fma_f64 v[172:173], v[166:167], s[28:29], v[144:145]
	v_fma_f64 v[144:145], v[166:167], s[28:29], -v[144:145]
	v_mul_f64 v[68:69], v[68:69], s[48:49]
	v_add_f64 v[170:171], v[238:239], v[170:171]
	v_add_f64 v[50:51], v[174:175], v[50:51]
	v_add_f64 v[58:59], v[148:149], v[58:59]
	v_mul_f64 v[148:149], v[136:137], s[24:25]
	v_fma_f64 v[152:153], v[166:167], s[14:15], -v[152:153]
	v_fma_f64 v[174:175], v[128:129], s[46:47], v[150:151]
	v_fma_f64 v[150:151], v[128:129], s[36:37], v[150:151]
	v_add_f64 v[48:49], v[168:169], v[48:49]
	v_add_f64 v[40:41], v[144:145], v[40:41]
	v_add_f64 v[144:145], v[126:127], -v[138:139]
	v_add_f64 v[126:127], v[126:127], v[138:139]
	v_mul_f64 v[136:137], v[136:137], s[6:7]
	v_fma_f64 v[168:169], v[166:167], s[6:7], v[68:69]
	v_fma_f64 v[68:69], v[166:167], s[6:7], -v[68:69]
	v_fma_f64 v[180:181], v[166:167], s[24:25], v[146:147]
	v_fma_f64 v[182:183], v[128:129], s[30:31], v[148:149]
	v_add_f64 v[46:47], v[152:153], v[46:47]
	v_add_f64 v[152:153], v[174:175], v[170:171]
	;; [unrolled: 1-line block ×3, first 2 shown]
	v_fma_f64 v[138:139], v[166:167], s[24:25], -v[146:147]
	v_fma_f64 v[146:147], v[128:129], s[52:53], v[148:149]
	v_add_f64 v[148:149], v[122:123], v[130:131]
	v_add_f64 v[122:123], v[122:123], -v[130:131]
	v_mul_f64 v[130:131], v[144:145], s[26:27]
	v_mul_f64 v[150:151], v[126:127], s[20:21]
	v_fma_f64 v[170:171], v[128:129], s[12:13], v[136:137]
	v_fma_f64 v[128:129], v[128:129], s[48:49], v[136:137]
	v_add_f64 v[4:5], v[68:69], v[4:5]
	v_mul_f64 v[68:69], v[144:145], s[46:47]
	v_add_f64 v[20:21], v[138:139], v[20:21]
	v_add_f64 v[22:23], v[146:147], v[22:23]
	v_fma_f64 v[136:137], v[148:149], s[20:21], v[130:131]
	v_fma_f64 v[138:139], v[122:123], s[44:45], v[150:151]
	v_add_f64 v[146:147], v[168:169], v[154:155]
	v_add_f64 v[154:155], v[170:171], v[164:165]
	;; [unrolled: 1-line block ×3, first 2 shown]
	v_mul_f64 v[128:129], v[126:127], s[28:29]
	v_fma_f64 v[164:165], v[148:149], s[28:29], v[68:69]
	v_fma_f64 v[68:69], v[148:149], s[28:29], -v[68:69]
	v_add_f64 v[8:9], v[136:137], v[8:9]
	v_add_f64 v[10:11], v[138:139], v[10:11]
	v_fma_f64 v[130:131], v[148:149], s[20:21], -v[130:131]
	v_fma_f64 v[136:137], v[122:123], s[26:27], v[150:151]
	v_mul_f64 v[138:139], v[144:145], s[48:49]
	v_mul_f64 v[150:151], v[126:127], s[6:7]
	v_fma_f64 v[166:167], v[122:123], s[36:37], v[128:129]
	v_fma_f64 v[128:129], v[122:123], s[46:47], v[128:129]
	v_add_f64 v[14:15], v[68:69], v[14:15]
	v_mul_f64 v[68:69], v[144:145], s[16:17]
	v_add_f64 v[12:13], v[130:131], v[12:13]
	v_add_f64 v[16:17], v[136:137], v[16:17]
	v_fma_f64 v[130:131], v[148:149], s[6:7], v[138:139]
	v_fma_f64 v[136:137], v[122:123], s[12:13], v[150:151]
	v_add_f64 v[28:29], v[164:165], v[28:29]
	v_add_f64 v[18:19], v[128:129], v[18:19]
	v_mul_f64 v[128:129], v[126:127], s[14:15]
	v_fma_f64 v[164:165], v[148:149], s[14:15], v[68:69]
	v_fma_f64 v[68:69], v[148:149], s[14:15], -v[68:69]
	v_add_f64 v[30:31], v[166:167], v[30:31]
	v_add_f64 v[36:37], v[130:131], v[36:37]
	;; [unrolled: 1-line block ×3, first 2 shown]
	v_fma_f64 v[130:131], v[148:149], s[6:7], -v[138:139]
	v_fma_f64 v[136:137], v[122:123], s[48:49], v[150:151]
	v_mul_f64 v[138:139], v[144:145], s[38:39]
	v_mul_f64 v[150:151], v[126:127], s[34:35]
	v_fma_f64 v[166:167], v[122:123], s[42:43], v[128:129]
	v_fma_f64 v[128:129], v[122:123], s[16:17], v[128:129]
	v_add_f64 v[24:25], v[68:69], v[24:25]
	v_mul_f64 v[68:69], v[144:145], s[54:55]
	v_add_f64 v[32:33], v[130:131], v[32:33]
	v_add_f64 v[34:35], v[136:137], v[34:35]
	v_fma_f64 v[130:131], v[148:149], s[34:35], v[138:139]
	v_fma_f64 v[136:137], v[122:123], s[50:51], v[150:151]
	v_add_f64 v[42:43], v[164:165], v[42:43]
	v_add_f64 v[26:27], v[128:129], v[26:27]
	v_mul_f64 v[128:129], v[126:127], s[18:19]
	v_fma_f64 v[164:165], v[148:149], s[18:19], v[68:69]
	v_fma_f64 v[68:69], v[148:149], s[18:19], -v[68:69]
	v_add_f64 v[50:51], v[166:167], v[50:51]
	v_add_f64 v[56:57], v[130:131], v[56:57]
	;; [unrolled: 1-line block ×3, first 2 shown]
	v_mul_f64 v[130:131], v[144:145], s[2:3]
	v_mul_f64 v[136:137], v[126:127], s[0:1]
	v_fma_f64 v[166:167], v[122:123], s[22:23], v[128:129]
	v_fma_f64 v[128:129], v[122:123], s[54:55], v[128:129]
	v_add_f64 v[40:41], v[68:69], v[40:41]
	v_add_f64 v[68:69], v[118:119], -v[124:125]
	v_add_f64 v[118:119], v[118:119], v[124:125]
	v_mul_f64 v[124:125], v[144:145], s[30:31]
	v_fma_f64 v[168:169], v[148:149], s[0:1], v[130:131]
	v_fma_f64 v[170:171], v[122:123], s[40:41], v[136:137]
	v_fma_f64 v[138:139], v[148:149], s[34:35], -v[138:139]
	v_add_f64 v[44:45], v[128:129], v[44:45]
	v_fma_f64 v[128:129], v[148:149], s[0:1], -v[130:131]
	v_fma_f64 v[130:131], v[122:123], s[2:3], v[136:137]
	v_add_f64 v[136:137], v[116:117], v[120:121]
	v_add_f64 v[116:117], v[116:117], -v[120:121]
	v_mul_f64 v[144:145], v[118:119], s[24:25]
	v_fma_f64 v[150:151], v[122:123], s[38:39], v[150:151]
	v_mul_f64 v[126:127], v[126:127], s[24:25]
	v_mul_f64 v[120:121], v[68:69], s[30:31]
	v_add_f64 v[20:21], v[128:129], v[20:21]
	v_add_f64 v[46:47], v[138:139], v[46:47]
	;; [unrolled: 1-line block ×4, first 2 shown]
	v_fma_f64 v[128:129], v[116:117], s[52:53], v[144:145]
	v_add_f64 v[48:49], v[150:151], v[48:49]
	v_fma_f64 v[150:151], v[148:149], s[24:25], v[124:125]
	v_fma_f64 v[152:153], v[122:123], s[52:53], v[126:127]
	v_fma_f64 v[124:125], v[148:149], s[24:25], -v[124:125]
	v_fma_f64 v[122:123], v[122:123], s[30:31], v[126:127]
	v_fma_f64 v[126:127], v[136:137], s[24:25], v[120:121]
	v_fma_f64 v[120:121], v[136:137], s[24:25], -v[120:121]
	v_add_f64 v[10:11], v[128:129], v[10:11]
	v_mul_f64 v[128:129], v[68:69], s[2:3]
	v_add_f64 v[130:131], v[150:151], v[146:147]
	v_add_f64 v[60:61], v[180:181], v[60:61]
	;; [unrolled: 1-line block ×4, first 2 shown]
	v_mul_f64 v[122:123], v[68:69], s[44:45]
	v_mul_f64 v[124:125], v[118:119], s[20:21]
	v_add_f64 v[8:9], v[126:127], v[8:9]
	v_fma_f64 v[126:127], v[116:117], s[30:31], v[144:145]
	v_mul_f64 v[144:145], v[118:119], s[0:1]
	v_add_f64 v[12:13], v[120:121], v[12:13]
	v_fma_f64 v[120:121], v[136:137], s[0:1], v[128:129]
	v_add_f64 v[62:63], v[182:183], v[62:63]
	v_fma_f64 v[148:149], v[136:137], s[20:21], v[122:123]
	v_fma_f64 v[150:151], v[116:117], s[26:27], v[124:125]
	v_fma_f64 v[122:123], v[136:137], s[20:21], -v[122:123]
	v_fma_f64 v[124:125], v[116:117], s[44:45], v[124:125]
	v_add_f64 v[16:17], v[126:127], v[16:17]
	v_fma_f64 v[126:127], v[116:117], s[40:41], v[144:145]
	v_add_f64 v[36:37], v[120:121], v[36:37]
	v_fma_f64 v[120:121], v[136:137], s[0:1], -v[128:129]
	v_mul_f64 v[128:129], v[68:69], s[54:55]
	v_add_f64 v[28:29], v[148:149], v[28:29]
	v_add_f64 v[14:15], v[122:123], v[14:15]
	;; [unrolled: 1-line block ×3, first 2 shown]
	v_mul_f64 v[122:123], v[68:69], s[36:37]
	v_mul_f64 v[124:125], v[118:119], s[28:29]
	v_add_f64 v[38:39], v[126:127], v[38:39]
	v_fma_f64 v[126:127], v[116:117], s[2:3], v[144:145]
	v_mul_f64 v[144:145], v[118:119], s[18:19]
	v_add_f64 v[32:33], v[120:121], v[32:33]
	v_fma_f64 v[120:121], v[136:137], s[18:19], v[128:129]
	v_add_f64 v[30:31], v[150:151], v[30:31]
	v_fma_f64 v[148:149], v[136:137], s[28:29], v[122:123]
	v_fma_f64 v[150:151], v[116:117], s[46:47], v[124:125]
	v_fma_f64 v[122:123], v[136:137], s[28:29], -v[122:123]
	v_fma_f64 v[124:125], v[116:117], s[36:37], v[124:125]
	v_add_f64 v[34:35], v[126:127], v[34:35]
	v_fma_f64 v[126:127], v[116:117], s[22:23], v[144:145]
	v_add_f64 v[56:57], v[120:121], v[56:57]
	v_fma_f64 v[120:121], v[136:137], s[18:19], -v[128:129]
	v_mul_f64 v[128:129], v[68:69], s[38:39]
	v_add_f64 v[60:61], v[168:169], v[60:61]
	v_add_f64 v[24:25], v[122:123], v[24:25]
	;; [unrolled: 1-line block ×3, first 2 shown]
	v_mul_f64 v[122:123], v[68:69], s[12:13]
	v_mul_f64 v[124:125], v[118:119], s[6:7]
	v_add_f64 v[58:59], v[126:127], v[58:59]
	v_fma_f64 v[126:127], v[116:117], s[54:55], v[144:145]
	v_mul_f64 v[144:145], v[118:119], s[34:35]
	v_add_f64 v[46:47], v[120:121], v[46:47]
	v_fma_f64 v[120:121], v[136:137], s[34:35], v[128:129]
	v_add_f64 v[62:63], v[170:171], v[62:63]
	v_add_f64 v[42:43], v[148:149], v[42:43]
	;; [unrolled: 1-line block ×3, first 2 shown]
	v_fma_f64 v[148:149], v[136:137], s[6:7], v[122:123]
	v_fma_f64 v[150:151], v[116:117], s[48:49], v[124:125]
	v_fma_f64 v[122:123], v[136:137], s[6:7], -v[122:123]
	v_fma_f64 v[124:125], v[116:117], s[12:13], v[124:125]
	v_add_f64 v[48:49], v[126:127], v[48:49]
	v_fma_f64 v[126:127], v[116:117], s[50:51], v[144:145]
	v_mul_f64 v[68:69], v[68:69], s[42:43]
	v_mul_f64 v[118:119], v[118:119], s[14:15]
	v_add_f64 v[60:61], v[120:121], v[60:61]
	v_add_f64 v[120:121], v[106:107], -v[114:115]
	v_add_f64 v[106:107], v[106:107], v[114:115]
	v_add_f64 v[146:147], v[152:153], v[154:155]
	;; [unrolled: 1-line block ×5, first 2 shown]
	v_fma_f64 v[114:115], v[136:137], s[34:35], -v[128:129]
	v_fma_f64 v[122:123], v[116:117], s[38:39], v[144:145]
	v_fma_f64 v[124:125], v[136:137], s[14:15], v[68:69]
	;; [unrolled: 1-line block ×3, first 2 shown]
	v_add_f64 v[128:129], v[104:105], v[112:113]
	v_add_f64 v[104:105], v[104:105], -v[112:113]
	v_mul_f64 v[112:113], v[120:121], s[36:37]
	v_mul_f64 v[144:145], v[106:107], s[28:29]
	v_add_f64 v[20:21], v[114:115], v[20:21]
	v_add_f64 v[22:23], v[122:123], v[22:23]
	v_fma_f64 v[68:69], v[136:137], s[14:15], -v[68:69]
	v_fma_f64 v[114:115], v[116:117], s[42:43], v[118:119]
	v_add_f64 v[116:117], v[124:125], v[130:131]
	v_add_f64 v[118:119], v[126:127], v[146:147]
	v_fma_f64 v[122:123], v[128:129], s[28:29], v[112:113]
	v_fma_f64 v[124:125], v[104:105], s[46:47], v[144:145]
	v_mul_f64 v[126:127], v[120:121], s[42:43]
	v_mul_f64 v[130:131], v[106:107], s[14:15]
	v_add_f64 v[4:5], v[68:69], v[4:5]
	v_add_f64 v[6:7], v[114:115], v[6:7]
	v_fma_f64 v[68:69], v[128:129], s[28:29], -v[112:113]
	v_fma_f64 v[112:113], v[104:105], s[36:37], v[144:145]
	v_add_f64 v[8:9], v[122:123], v[8:9]
	v_add_f64 v[10:11], v[124:125], v[10:11]
	v_fma_f64 v[114:115], v[128:129], s[14:15], v[126:127]
	v_fma_f64 v[122:123], v[104:105], s[16:17], v[130:131]
	v_mul_f64 v[124:125], v[120:121], s[22:23]
	v_mul_f64 v[136:137], v[106:107], s[18:19]
	v_add_f64 v[70:71], v[236:237], v[70:71]
	v_add_f64 v[12:13], v[68:69], v[12:13]
	v_add_f64 v[16:17], v[112:113], v[16:17]
	v_fma_f64 v[68:69], v[128:129], s[14:15], -v[126:127]
	v_fma_f64 v[112:113], v[104:105], s[42:43], v[130:131]
	v_add_f64 v[28:29], v[114:115], v[28:29]
	v_add_f64 v[30:31], v[122:123], v[30:31]
	v_fma_f64 v[114:115], v[128:129], s[18:19], v[124:125]
	v_fma_f64 v[122:123], v[104:105], s[54:55], v[136:137]
	v_mul_f64 v[126:127], v[120:121], s[52:53]
	v_mul_f64 v[130:131], v[106:107], s[24:25]
	v_add_f64 v[70:71], v[172:173], v[70:71]
	;; [unrolled: 11-line block ×4, first 2 shown]
	v_add_f64 v[138:139], v[150:151], v[138:139]
	v_add_f64 v[24:25], v[32:33], v[24:25]
	;; [unrolled: 1-line block ×3, first 2 shown]
	v_fma_f64 v[32:33], v[128:129], s[0:1], -v[124:125]
	v_fma_f64 v[34:35], v[104:105], s[2:3], v[136:137]
	v_add_f64 v[56:57], v[114:115], v[56:57]
	v_add_f64 v[58:59], v[122:123], v[58:59]
	v_fma_f64 v[114:115], v[128:129], s[34:35], v[126:127]
	v_fma_f64 v[122:123], v[104:105], s[50:51], v[130:131]
	v_mul_f64 v[136:137], v[106:107], s[6:7]
	v_mul_f64 v[124:125], v[120:121], s[48:49]
	v_add_f64 v[144:145], v[32:33], v[46:47]
	v_add_f64 v[48:49], v[34:35], v[48:49]
	v_fma_f64 v[32:33], v[128:129], s[34:35], -v[126:127]
	v_fma_f64 v[34:35], v[104:105], s[38:39], v[130:131]
	v_add_f64 v[70:71], v[114:115], v[70:71]
	v_add_f64 v[114:115], v[122:123], v[138:139]
	v_fma_f64 v[122:123], v[104:105], s[12:13], v[136:137]
	v_fma_f64 v[46:47], v[128:129], s[6:7], v[124:125]
	v_fma_f64 v[124:125], v[128:129], s[6:7], -v[124:125]
	v_fma_f64 v[126:127], v[104:105], s[48:49], v[136:137]
	v_add_f64 v[130:131], v[32:33], v[40:41]
	v_add_f64 v[136:137], v[34:35], v[44:45]
	v_mul_f64 v[32:33], v[120:121], s[26:27]
	v_mul_f64 v[34:35], v[106:107], s[20:21]
	v_add_f64 v[62:63], v[122:123], v[62:63]
	v_add_f64 v[122:123], v[98:99], -v[102:103]
	v_add_f64 v[60:61], v[46:47], v[60:61]
	v_add_f64 v[106:107], v[124:125], v[20:21]
	;; [unrolled: 1-line block ×4, first 2 shown]
	v_fma_f64 v[20:21], v[128:129], s[20:21], v[32:33]
	v_fma_f64 v[22:23], v[104:105], s[44:45], v[34:35]
	v_fma_f64 v[32:33], v[128:129], s[20:21], -v[32:33]
	v_add_f64 v[102:103], v[96:97], v[100:101]
	v_mul_f64 v[40:41], v[122:123], s[38:39]
	v_add_f64 v[46:47], v[220:221], v[64:65]
	v_fma_f64 v[34:35], v[104:105], s[26:27], v[34:35]
	v_add_f64 v[96:97], v[96:97], -v[100:101]
	v_mul_f64 v[44:45], v[98:99], s[34:35]
	v_add_f64 v[100:101], v[222:223], v[66:67]
	v_add_f64 v[104:105], v[20:21], v[116:117]
	;; [unrolled: 1-line block ×4, first 2 shown]
	v_fma_f64 v[4:5], v[102:103], s[34:35], v[40:41]
	v_add_f64 v[32:33], v[46:47], v[80:81]
	v_add_f64 v[124:125], v[34:35], v[6:7]
	v_fma_f64 v[6:7], v[96:97], s[50:51], v[44:45]
	v_add_f64 v[34:35], v[100:101], v[82:83]
	v_fma_f64 v[40:41], v[102:103], s[34:35], -v[40:41]
	v_mul_f64 v[46:47], v[122:123], s[40:41]
	v_fma_f64 v[44:45], v[96:97], s[38:39], v[44:45]
	v_add_f64 v[20:21], v[4:5], v[8:9]
	v_add_f64 v[8:9], v[32:33], v[76:77]
	v_mul_f64 v[100:101], v[98:99], s[0:1]
	v_add_f64 v[22:23], v[6:7], v[10:11]
	v_add_f64 v[10:11], v[34:35], v[78:79]
	v_add_f64 v[4:5], v[40:41], v[12:13]
	v_fma_f64 v[12:13], v[102:103], s[0:1], v[46:47]
	v_add_f64 v[6:7], v[44:45], v[16:17]
	v_fma_f64 v[32:33], v[102:103], s[0:1], -v[46:47]
	v_add_f64 v[40:41], v[8:9], v[228:229]
	v_fma_f64 v[16:17], v[96:97], s[2:3], v[100:101]
	v_mul_f64 v[46:47], v[122:123], s[36:37]
	v_add_f64 v[44:45], v[10:11], v[230:231]
	v_fma_f64 v[34:35], v[96:97], s[40:41], v[100:101]
	v_add_f64 v[28:29], v[12:13], v[28:29]
	v_mul_f64 v[100:101], v[98:99], s[28:29]
	v_add_f64 v[8:9], v[32:33], v[14:15]
	v_add_f64 v[12:13], v[40:41], v[208:209]
	;; [unrolled: 1-line block ×3, first 2 shown]
	v_fma_f64 v[16:17], v[102:103], s[28:29], v[46:47]
	v_add_f64 v[14:15], v[44:45], v[210:211]
	v_add_f64 v[10:11], v[34:35], v[18:19]
	v_fma_f64 v[40:41], v[102:103], s[28:29], -v[46:47]
	v_fma_f64 v[18:19], v[96:97], s[46:47], v[100:101]
	v_fma_f64 v[44:45], v[96:97], s[36:37], v[100:101]
	v_add_f64 v[126:127], v[12:13], v[200:201]
	v_mul_f64 v[46:47], v[122:123], s[48:49]
	v_add_f64 v[32:33], v[16:17], v[36:37]
	v_add_f64 v[128:129], v[14:15], v[202:203]
	v_mul_f64 v[100:101], v[98:99], s[6:7]
	v_add_f64 v[12:13], v[40:41], v[68:69]
	v_add_f64 v[34:35], v[18:19], v[38:39]
	;; [unrolled: 1-line block ×4, first 2 shown]
	v_fma_f64 v[16:17], v[102:103], s[6:7], v[46:47]
	v_fma_f64 v[44:45], v[102:103], s[6:7], -v[46:47]
	v_add_f64 v[38:39], v[128:129], v[162:163]
	v_fma_f64 v[18:19], v[96:97], s[12:13], v[100:101]
	v_fma_f64 v[46:47], v[96:97], s[48:49], v[100:101]
	v_mul_f64 v[68:69], v[122:123], s[30:31]
	v_mul_f64 v[100:101], v[98:99], s[24:25]
	v_add_f64 v[36:37], v[36:37], v[72:73]
	v_add_f64 v[40:41], v[16:17], v[42:43]
	v_add_f64 v[16:17], v[44:45], v[24:25]
	v_add_f64 v[38:39], v[38:39], v[88:89]
	v_add_f64 v[42:43], v[18:19], v[50:51]
	v_add_f64 v[18:19], v[46:47], v[26:27]
	v_fma_f64 v[24:25], v[102:103], s[24:25], v[68:69]
	v_fma_f64 v[26:27], v[96:97], s[52:53], v[100:101]
	v_add_f64 v[36:37], v[36:37], v[74:75]
	v_fma_f64 v[50:51], v[102:103], s[24:25], -v[68:69]
	v_fma_f64 v[68:69], v[96:97], s[30:31], v[100:101]
	v_add_f64 v[38:39], v[38:39], v[90:91]
	v_mul_f64 v[100:101], v[122:123], s[42:43]
	v_mul_f64 v[112:113], v[98:99], s[14:15]
	v_add_f64 v[44:45], v[24:25], v[56:57]
	v_add_f64 v[46:47], v[26:27], v[58:59]
	;; [unrolled: 1-line block ×6, first 2 shown]
	v_fma_f64 v[48:49], v[102:103], s[14:15], v[100:101]
	v_fma_f64 v[50:51], v[96:97], s[16:17], v[112:113]
	v_mul_f64 v[68:69], v[122:123], s[26:27]
	v_mul_f64 v[126:127], v[98:99], s[20:21]
	v_add_f64 v[128:129], v[36:37], v[204:205]
	v_fma_f64 v[100:101], v[102:103], s[14:15], -v[100:101]
	v_fma_f64 v[112:113], v[96:97], s[42:43], v[112:113]
	v_add_f64 v[138:139], v[38:39], v[206:207]
	v_add_f64 v[56:57], v[48:49], v[70:71]
	;; [unrolled: 1-line block ×3, first 2 shown]
	v_fma_f64 v[48:49], v[102:103], s[20:21], v[68:69]
	v_fma_f64 v[50:51], v[96:97], s[44:45], v[126:127]
	v_add_f64 v[70:71], v[128:129], v[224:225]
	v_add_f64 v[36:37], v[100:101], v[130:131]
	;; [unrolled: 1-line block ×4, first 2 shown]
	v_fma_f64 v[68:69], v[102:103], s[20:21], -v[68:69]
	v_fma_f64 v[112:113], v[96:97], s[26:27], v[126:127]
	v_add_f64 v[60:61], v[48:49], v[60:61]
	v_add_f64 v[62:63], v[50:51], v[62:63]
	;; [unrolled: 1-line block ×3, first 2 shown]
	v_mul_f64 v[114:115], v[122:123], s[54:55]
	v_mul_f64 v[98:99], v[98:99], s[18:19]
	v_add_f64 v[100:101], v[100:101], v[234:235]
	v_add_f64 v[48:49], v[68:69], v[106:107]
	;; [unrolled: 1-line block ×3, first 2 shown]
	v_add_f64 v[106:107], v[66:67], -v[54:55]
	v_add_f64 v[112:113], v[66:67], v[54:55]
	v_add_f64 v[68:69], v[70:71], v[156:157]
	v_fma_f64 v[66:67], v[102:103], s[18:19], v[114:115]
	v_fma_f64 v[120:121], v[96:97], s[22:23], v[98:99]
	v_add_f64 v[70:71], v[100:101], v[214:215]
	v_add_f64 v[100:101], v[64:65], v[52:53]
	v_add_f64 v[122:123], v[64:65], -v[52:53]
	v_mul_f64 v[126:127], v[106:107], s[2:3]
	v_mul_f64 v[128:129], v[112:113], s[0:1]
	v_fma_f64 v[64:65], v[102:103], s[18:19], -v[114:115]
	v_fma_f64 v[96:97], v[96:97], s[54:55], v[98:99]
	v_add_f64 v[98:99], v[68:69], v[84:85]
	v_mul_f64 v[168:169], v[106:107], s[36:37]
	v_mul_f64 v[170:171], v[112:113], s[28:29]
	v_add_f64 v[236:237], v[82:83], -v[86:87]
	v_add_f64 v[82:83], v[82:83], v[86:87]
	v_add_f64 v[102:103], v[70:71], v[86:87]
	;; [unrolled: 1-line block ×4, first 2 shown]
	v_fma_f64 v[104:105], v[100:101], s[0:1], v[126:127]
	v_fma_f64 v[114:115], v[122:123], s[40:41], v[128:129]
	v_add_f64 v[64:65], v[64:65], v[118:119]
	v_add_f64 v[66:67], v[96:97], v[124:125]
	;; [unrolled: 1-line block ×3, first 2 shown]
	v_mul_f64 v[96:97], v[106:107], s[12:13]
	v_mul_f64 v[98:99], v[112:113], s[6:7]
	;; [unrolled: 1-line block ×10, first 2 shown]
	v_fma_f64 v[180:181], v[100:101], s[28:29], v[168:169]
	v_fma_f64 v[182:183], v[122:123], s[46:47], v[170:171]
	v_mul_f64 v[86:87], v[106:107], s[38:39]
	v_mul_f64 v[106:107], v[112:113], s[34:35]
	v_fma_f64 v[112:113], v[100:101], s[28:29], -v[168:169]
	v_fma_f64 v[168:169], v[122:123], s[36:37], v[170:171]
	v_add_f64 v[170:171], v[80:81], v[84:85]
	v_add_f64 v[80:81], v[80:81], -v[84:85]
	v_mul_f64 v[84:85], v[236:237], s[12:13]
	v_mul_f64 v[238:239], v[82:83], s[6:7]
	v_add_f64 v[54:55], v[102:103], v[54:55]
	v_add_f64 v[102:103], v[220:221], v[104:105]
	;; [unrolled: 1-line block ×3, first 2 shown]
	v_fma_f64 v[114:115], v[100:101], s[0:1], -v[126:127]
	v_fma_f64 v[116:117], v[122:123], s[2:3], v[128:129]
	v_fma_f64 v[124:125], v[100:101], s[6:7], v[96:97]
	v_fma_f64 v[126:127], v[122:123], s[48:49], v[98:99]
	v_fma_f64 v[96:97], v[100:101], s[6:7], -v[96:97]
	v_fma_f64 v[98:99], v[122:123], s[12:13], v[98:99]
	v_fma_f64 v[128:129], v[100:101], s[14:15], v[118:119]
	v_fma_f64 v[130:131], v[122:123], s[42:43], v[120:121]
	;; [unrolled: 4-line block ×6, first 2 shown]
	v_fma_f64 v[86:87], v[100:101], s[34:35], -v[86:87]
	v_fma_f64 v[100:101], v[122:123], s[38:39], v[106:107]
	v_add_f64 v[106:107], v[220:221], v[112:113]
	v_add_f64 v[112:113], v[222:223], v[168:169]
	v_fma_f64 v[122:123], v[170:171], s[6:7], v[84:85]
	v_fma_f64 v[168:169], v[80:81], s[48:49], v[238:239]
	v_add_f64 v[114:115], v[220:221], v[114:115]
	v_add_f64 v[116:117], v[222:223], v[116:117]
	;; [unrolled: 1-line block ×28, first 2 shown]
	v_mul_f64 v[220:221], v[236:237], s[22:23]
	v_mul_f64 v[222:223], v[82:83], s[18:19]
	v_add_f64 v[102:103], v[122:123], v[102:103]
	v_add_f64 v[104:105], v[168:169], v[104:105]
	v_fma_f64 v[84:85], v[170:171], s[6:7], -v[84:85]
	v_fma_f64 v[122:123], v[80:81], s[12:13], v[238:239]
	v_mul_f64 v[168:169], v[236:237], s[30:31]
	v_mul_f64 v[238:239], v[82:83], s[24:25]
	v_fma_f64 v[245:246], v[170:171], s[18:19], v[220:221]
	v_fma_f64 v[247:248], v[80:81], s[54:55], v[222:223]
	v_fma_f64 v[220:221], v[170:171], s[18:19], -v[220:221]
	v_fma_f64 v[222:223], v[80:81], s[22:23], v[222:223]
	v_add_f64 v[84:85], v[84:85], v[114:115]
	v_add_f64 v[114:115], v[122:123], v[116:117]
	v_fma_f64 v[116:117], v[170:171], s[24:25], v[168:169]
	v_fma_f64 v[122:123], v[80:81], s[52:53], v[238:239]
	v_add_f64 v[124:125], v[245:246], v[124:125]
	v_add_f64 v[126:127], v[247:248], v[126:127]
	;; [unrolled: 1-line block ×4, first 2 shown]
	v_mul_f64 v[220:221], v[236:237], s[38:39]
	v_mul_f64 v[222:223], v[82:83], s[34:35]
	v_add_f64 v[116:117], v[116:117], v[128:129]
	v_add_f64 v[122:123], v[122:123], v[130:131]
	v_fma_f64 v[128:129], v[170:171], s[24:25], -v[168:169]
	v_fma_f64 v[130:131], v[80:81], s[30:31], v[238:239]
	v_mul_f64 v[168:169], v[236:237], s[46:47]
	v_mul_f64 v[238:239], v[82:83], s[28:29]
	v_fma_f64 v[245:246], v[170:171], s[34:35], v[220:221]
	v_fma_f64 v[247:248], v[80:81], s[50:51], v[222:223]
	v_fma_f64 v[220:221], v[170:171], s[34:35], -v[220:221]
	v_fma_f64 v[222:223], v[80:81], s[38:39], v[222:223]
	v_add_f64 v[118:119], v[128:129], v[118:119]
	v_add_f64 v[120:121], v[130:131], v[120:121]
	v_fma_f64 v[128:129], v[170:171], s[28:29], v[168:169]
	v_fma_f64 v[130:131], v[80:81], s[36:37], v[238:239]
	v_add_f64 v[148:149], v[245:246], v[148:149]
	v_add_f64 v[150:151], v[247:248], v[150:151]
	;; [unrolled: 1-line block ×4, first 2 shown]
	v_mul_f64 v[220:221], v[236:237], s[44:45]
	v_mul_f64 v[222:223], v[82:83], s[20:21]
	v_add_f64 v[128:129], v[128:129], v[152:153]
	v_add_f64 v[130:131], v[130:131], v[154:155]
	v_mul_f64 v[152:153], v[236:237], s[42:43]
	v_mul_f64 v[154:155], v[82:83], s[14:15]
	v_fma_f64 v[168:169], v[170:171], s[28:29], -v[168:169]
	v_fma_f64 v[238:239], v[80:81], s[46:47], v[238:239]
	v_fma_f64 v[245:246], v[170:171], s[20:21], v[220:221]
	;; [unrolled: 1-line block ×3, first 2 shown]
	v_fma_f64 v[220:221], v[170:171], s[20:21], -v[220:221]
	v_fma_f64 v[222:223], v[80:81], s[44:45], v[222:223]
	v_fma_f64 v[249:250], v[170:171], s[14:15], v[152:153]
	;; [unrolled: 1-line block ×3, first 2 shown]
	v_add_f64 v[144:145], v[168:169], v[144:145]
	v_mul_f64 v[82:83], v[82:83], s[0:1]
	v_add_f64 v[168:169], v[245:246], v[172:173]
	v_add_f64 v[172:173], v[247:248], v[174:175]
	v_add_f64 v[164:165], v[220:221], v[164:165]
	v_add_f64 v[166:167], v[222:223], v[166:167]
	v_add_f64 v[174:175], v[249:250], v[180:181]
	v_add_f64 v[180:181], v[251:252], v[182:183]
	v_add_f64 v[182:183], v[78:79], -v[214:215]
	v_add_f64 v[78:79], v[78:79], v[214:215]
	v_mul_f64 v[214:215], v[236:237], s[40:41]
	v_fma_f64 v[152:153], v[170:171], s[14:15], -v[152:153]
	v_fma_f64 v[154:155], v[80:81], s[42:43], v[154:155]
	v_add_f64 v[220:221], v[76:77], v[156:157]
	v_add_f64 v[76:77], v[76:77], -v[156:157]
	v_add_f64 v[146:147], v[238:239], v[146:147]
	v_mul_f64 v[156:157], v[182:183], s[16:17]
	v_mul_f64 v[222:223], v[78:79], s[14:15]
	v_fma_f64 v[236:237], v[170:171], s[0:1], v[214:215]
	v_fma_f64 v[238:239], v[80:81], s[2:3], v[82:83]
	v_fma_f64 v[170:171], v[170:171], s[0:1], -v[214:215]
	v_fma_f64 v[80:81], v[80:81], s[40:41], v[82:83]
	v_add_f64 v[82:83], v[152:153], v[106:107]
	v_add_f64 v[106:107], v[154:155], v[112:113]
	v_fma_f64 v[112:113], v[220:221], s[14:15], v[156:157]
	v_fma_f64 v[152:153], v[76:77], s[42:43], v[222:223]
	v_add_f64 v[154:155], v[236:237], v[241:242]
	v_add_f64 v[214:215], v[238:239], v[243:244]
	;; [unrolled: 1-line block ×4, first 2 shown]
	v_mul_f64 v[100:101], v[182:183], s[30:31]
	v_mul_f64 v[170:171], v[78:79], s[24:25]
	v_add_f64 v[102:103], v[112:113], v[102:103]
	v_add_f64 v[104:105], v[152:153], v[104:105]
	v_fma_f64 v[112:113], v[220:221], s[14:15], -v[156:157]
	v_fma_f64 v[152:153], v[76:77], s[16:17], v[222:223]
	v_mul_f64 v[156:157], v[182:183], s[50:51]
	v_mul_f64 v[222:223], v[78:79], s[34:35]
	v_fma_f64 v[236:237], v[220:221], s[24:25], v[100:101]
	v_fma_f64 v[238:239], v[76:77], s[52:53], v[170:171]
	v_fma_f64 v[100:101], v[220:221], s[24:25], -v[100:101]
	v_fma_f64 v[170:171], v[76:77], s[30:31], v[170:171]
	v_add_f64 v[84:85], v[112:113], v[84:85]
	v_add_f64 v[112:113], v[152:153], v[114:115]
	v_fma_f64 v[114:115], v[220:221], s[34:35], v[156:157]
	v_fma_f64 v[152:153], v[76:77], s[38:39], v[222:223]
	v_add_f64 v[124:125], v[236:237], v[124:125]
	v_add_f64 v[126:127], v[238:239], v[126:127]
	;; [unrolled: 1-line block ×4, first 2 shown]
	v_mul_f64 v[100:101], v[182:183], s[44:45]
	v_mul_f64 v[170:171], v[78:79], s[20:21]
	v_add_f64 v[114:115], v[114:115], v[116:117]
	v_add_f64 v[116:117], v[152:153], v[122:123]
	v_fma_f64 v[122:123], v[220:221], s[34:35], -v[156:157]
	v_fma_f64 v[152:153], v[76:77], s[50:51], v[222:223]
	v_mul_f64 v[156:157], v[182:183], s[48:49]
	v_mul_f64 v[222:223], v[78:79], s[6:7]
	v_fma_f64 v[236:237], v[220:221], s[20:21], v[100:101]
	v_fma_f64 v[238:239], v[76:77], s[26:27], v[170:171]
	v_fma_f64 v[100:101], v[220:221], s[20:21], -v[100:101]
	v_fma_f64 v[170:171], v[76:77], s[44:45], v[170:171]
	v_add_f64 v[118:119], v[122:123], v[118:119]
	v_add_f64 v[120:121], v[152:153], v[120:121]
	v_fma_f64 v[122:123], v[220:221], s[6:7], v[156:157]
	v_fma_f64 v[152:153], v[76:77], s[12:13], v[222:223]
	v_add_f64 v[148:149], v[236:237], v[148:149]
	v_add_f64 v[150:151], v[238:239], v[150:151]
	;; [unrolled: 1-line block ×4, first 2 shown]
	v_mul_f64 v[138:139], v[182:183], s[2:3]
	v_mul_f64 v[170:171], v[78:79], s[0:1]
	v_add_f64 v[122:123], v[122:123], v[128:129]
	v_add_f64 v[128:129], v[152:153], v[130:131]
	v_mul_f64 v[130:131], v[182:183], s[22:23]
	v_mul_f64 v[152:153], v[78:79], s[18:19]
	v_fma_f64 v[156:157], v[220:221], s[6:7], -v[156:157]
	v_fma_f64 v[222:223], v[76:77], s[48:49], v[222:223]
	v_fma_f64 v[236:237], v[220:221], s[0:1], v[138:139]
	;; [unrolled: 1-line block ×3, first 2 shown]
	v_fma_f64 v[138:139], v[220:221], s[0:1], -v[138:139]
	v_fma_f64 v[170:171], v[76:77], s[2:3], v[170:171]
	v_fma_f64 v[241:242], v[220:221], s[18:19], v[130:131]
	;; [unrolled: 1-line block ×3, first 2 shown]
	v_add_f64 v[144:145], v[156:157], v[144:145]
	v_add_f64 v[146:147], v[222:223], v[146:147]
	;; [unrolled: 1-line block ×7, first 2 shown]
	v_add_f64 v[172:173], v[230:231], -v[234:235]
	v_add_f64 v[174:175], v[230:231], v[234:235]
	v_add_f64 v[170:171], v[243:244], v[180:181]
	v_mul_f64 v[180:181], v[182:183], s[36:37]
	v_mul_f64 v[78:79], v[78:79], s[28:29]
	v_fma_f64 v[130:131], v[220:221], s[18:19], -v[130:131]
	v_fma_f64 v[152:153], v[76:77], s[22:23], v[152:153]
	v_add_f64 v[182:183], v[228:229], v[232:233]
	v_add_f64 v[222:223], v[228:229], -v[232:233]
	v_mul_f64 v[228:229], v[172:173], s[22:23]
	v_mul_f64 v[230:231], v[174:175], s[18:19]
	v_fma_f64 v[232:233], v[220:221], s[28:29], v[180:181]
	v_fma_f64 v[234:235], v[76:77], s[46:47], v[78:79]
	v_fma_f64 v[180:181], v[220:221], s[28:29], -v[180:181]
	v_fma_f64 v[76:77], v[76:77], s[36:37], v[78:79]
	v_add_f64 v[78:79], v[130:131], v[82:83]
	v_add_f64 v[82:83], v[152:153], v[106:107]
	v_fma_f64 v[106:107], v[182:183], s[18:19], v[228:229]
	v_fma_f64 v[130:131], v[222:223], s[54:55], v[230:231]
	v_add_f64 v[152:153], v[232:233], v[154:155]
	v_add_f64 v[154:155], v[234:235], v[214:215]
	;; [unrolled: 1-line block ×4, first 2 shown]
	v_mul_f64 v[80:81], v[172:173], s[38:39]
	v_mul_f64 v[180:181], v[174:175], s[34:35]
	v_add_f64 v[102:103], v[106:107], v[102:103]
	v_add_f64 v[104:105], v[130:131], v[104:105]
	v_fma_f64 v[106:107], v[182:183], s[18:19], -v[228:229]
	v_fma_f64 v[130:131], v[222:223], s[22:23], v[230:231]
	v_mul_f64 v[214:215], v[172:173], s[44:45]
	v_mul_f64 v[220:221], v[174:175], s[20:21]
	v_fma_f64 v[228:229], v[182:183], s[34:35], v[80:81]
	v_fma_f64 v[230:231], v[222:223], s[50:51], v[180:181]
	v_fma_f64 v[80:81], v[182:183], s[34:35], -v[80:81]
	v_fma_f64 v[180:181], v[222:223], s[38:39], v[180:181]
	v_add_f64 v[84:85], v[106:107], v[84:85]
	v_add_f64 v[106:107], v[130:131], v[112:113]
	v_fma_f64 v[112:113], v[182:183], s[20:21], v[214:215]
	v_fma_f64 v[130:131], v[222:223], s[26:27], v[220:221]
	v_add_f64 v[124:125], v[228:229], v[124:125]
	v_add_f64 v[126:127], v[230:231], v[126:127]
	;; [unrolled: 1-line block ×4, first 2 shown]
	v_mul_f64 v[98:99], v[172:173], s[40:41]
	v_mul_f64 v[180:181], v[174:175], s[0:1]
	v_add_f64 v[112:113], v[112:113], v[114:115]
	v_add_f64 v[114:115], v[130:131], v[116:117]
	v_fma_f64 v[116:117], v[182:183], s[20:21], -v[214:215]
	v_fma_f64 v[130:131], v[222:223], s[44:45], v[220:221]
	v_mul_f64 v[214:215], v[172:173], s[16:17]
	v_mul_f64 v[220:221], v[174:175], s[14:15]
	v_fma_f64 v[228:229], v[182:183], s[0:1], v[98:99]
	v_fma_f64 v[230:231], v[222:223], s[2:3], v[180:181]
	v_fma_f64 v[98:99], v[182:183], s[0:1], -v[98:99]
	v_fma_f64 v[180:181], v[222:223], s[40:41], v[180:181]
	v_add_f64 v[116:117], v[116:117], v[118:119]
	v_add_f64 v[118:119], v[130:131], v[120:121]
	v_fma_f64 v[120:121], v[182:183], s[14:15], v[214:215]
	v_fma_f64 v[130:131], v[222:223], s[42:43], v[220:221]
	v_add_f64 v[148:149], v[228:229], v[148:149]
	v_add_f64 v[150:151], v[230:231], v[150:151]
	;; [unrolled: 1-line block ×4, first 2 shown]
	v_mul_f64 v[136:137], v[172:173], s[36:37]
	v_mul_f64 v[180:181], v[174:175], s[28:29]
	v_add_f64 v[120:121], v[120:121], v[122:123]
	v_add_f64 v[122:123], v[130:131], v[128:129]
	v_mul_f64 v[128:129], v[172:173], s[52:53]
	v_mul_f64 v[130:131], v[174:175], s[24:25]
	v_fma_f64 v[214:215], v[182:183], s[14:15], -v[214:215]
	v_fma_f64 v[220:221], v[222:223], s[16:17], v[220:221]
	v_fma_f64 v[228:229], v[182:183], s[28:29], v[136:137]
	;; [unrolled: 1-line block ×3, first 2 shown]
	v_fma_f64 v[136:137], v[182:183], s[28:29], -v[136:137]
	v_fma_f64 v[180:181], v[222:223], s[36:37], v[180:181]
	v_fma_f64 v[232:233], v[182:183], s[24:25], v[128:129]
	v_fma_f64 v[234:235], v[222:223], s[30:31], v[130:131]
	v_mul_f64 v[172:173], v[172:173], s[48:49]
	v_mul_f64 v[174:175], v[174:175], s[6:7]
	v_add_f64 v[144:145], v[214:215], v[144:145]
	v_add_f64 v[146:147], v[220:221], v[146:147]
	;; [unrolled: 1-line block ×6, first 2 shown]
	v_add_f64 v[170:171], v[210:211], -v[226:227]
	v_add_f64 v[180:181], v[210:211], v[226:227]
	v_fma_f64 v[128:129], v[182:183], s[24:25], -v[128:129]
	v_fma_f64 v[130:131], v[222:223], s[52:53], v[130:131]
	v_add_f64 v[210:211], v[208:209], v[224:225]
	v_add_f64 v[208:209], v[208:209], -v[224:225]
	v_fma_f64 v[224:225], v[182:183], s[6:7], v[172:173]
	v_fma_f64 v[226:227], v[222:223], s[12:13], v[174:175]
	v_mul_f64 v[214:215], v[170:171], s[26:27]
	v_mul_f64 v[220:221], v[180:181], s[20:21]
	v_fma_f64 v[172:173], v[182:183], s[6:7], -v[172:173]
	v_fma_f64 v[174:175], v[222:223], s[48:49], v[174:175]
	v_add_f64 v[78:79], v[128:129], v[78:79]
	v_add_f64 v[82:83], v[130:131], v[82:83]
	v_mul_f64 v[182:183], v[170:171], s[48:49]
	v_add_f64 v[152:153], v[224:225], v[152:153]
	v_fma_f64 v[128:129], v[210:211], s[20:21], v[214:215]
	v_fma_f64 v[130:131], v[208:209], s[44:45], v[220:221]
	v_add_f64 v[86:87], v[172:173], v[86:87]
	v_add_f64 v[76:77], v[174:175], v[76:77]
	v_mul_f64 v[172:173], v[170:171], s[46:47]
	v_mul_f64 v[174:175], v[180:181], s[28:29]
	v_add_f64 v[154:155], v[226:227], v[154:155]
	v_add_f64 v[156:157], v[228:229], v[156:157]
	;; [unrolled: 1-line block ×4, first 2 shown]
	v_fma_f64 v[128:129], v[210:211], s[20:21], -v[214:215]
	v_fma_f64 v[130:131], v[208:209], s[26:27], v[220:221]
	v_fma_f64 v[220:221], v[210:211], s[28:29], v[172:173]
	;; [unrolled: 1-line block ×3, first 2 shown]
	v_fma_f64 v[172:173], v[210:211], s[28:29], -v[172:173]
	v_fma_f64 v[174:175], v[208:209], s[46:47], v[174:175]
	v_mul_f64 v[214:215], v[180:181], s[6:7]
	v_add_f64 v[168:169], v[230:231], v[168:169]
	v_add_f64 v[84:85], v[128:129], v[84:85]
	v_fma_f64 v[128:129], v[210:211], s[6:7], v[182:183]
	v_add_f64 v[106:107], v[130:131], v[106:107]
	v_add_f64 v[124:125], v[220:221], v[124:125]
	;; [unrolled: 1-line block ×4, first 2 shown]
	v_mul_f64 v[172:173], v[170:171], s[16:17]
	v_mul_f64 v[174:175], v[180:181], s[14:15]
	v_fma_f64 v[130:131], v[208:209], s[12:13], v[214:215]
	v_add_f64 v[126:127], v[222:223], v[126:127]
	v_add_f64 v[112:113], v[128:129], v[112:113]
	v_fma_f64 v[128:129], v[210:211], s[6:7], -v[182:183]
	v_mul_f64 v[182:183], v[170:171], s[38:39]
	v_fma_f64 v[220:221], v[210:211], s[14:15], v[172:173]
	v_fma_f64 v[222:223], v[208:209], s[42:43], v[174:175]
	v_fma_f64 v[172:173], v[210:211], s[14:15], -v[172:173]
	v_fma_f64 v[174:175], v[208:209], s[16:17], v[174:175]
	v_add_f64 v[114:115], v[130:131], v[114:115]
	v_fma_f64 v[130:131], v[208:209], s[48:49], v[214:215]
	v_mul_f64 v[214:215], v[180:181], s[34:35]
	v_add_f64 v[116:117], v[128:129], v[116:117]
	v_fma_f64 v[128:129], v[210:211], s[34:35], v[182:183]
	v_add_f64 v[148:149], v[220:221], v[148:149]
	v_add_f64 v[98:99], v[172:173], v[98:99]
	;; [unrolled: 1-line block ×3, first 2 shown]
	v_mul_f64 v[172:173], v[170:171], s[54:55]
	v_mul_f64 v[174:175], v[180:181], s[18:19]
	v_add_f64 v[118:119], v[130:131], v[118:119]
	v_fma_f64 v[130:131], v[208:209], s[50:51], v[214:215]
	v_add_f64 v[150:151], v[222:223], v[150:151]
	v_add_f64 v[120:121], v[128:129], v[120:121]
	v_mul_f64 v[128:129], v[170:171], s[2:3]
	v_mul_f64 v[170:171], v[170:171], s[30:31]
	v_fma_f64 v[220:221], v[210:211], s[18:19], v[172:173]
	v_fma_f64 v[222:223], v[208:209], s[22:23], v[174:175]
	v_fma_f64 v[172:173], v[210:211], s[18:19], -v[172:173]
	v_fma_f64 v[174:175], v[208:209], s[54:55], v[174:175]
	v_add_f64 v[122:123], v[130:131], v[122:123]
	v_mul_f64 v[130:131], v[180:181], s[0:1]
	v_fma_f64 v[182:183], v[210:211], s[34:35], -v[182:183]
	v_fma_f64 v[214:215], v[208:209], s[38:39], v[214:215]
	v_mul_f64 v[180:181], v[180:181], s[24:25]
	v_fma_f64 v[224:225], v[210:211], s[0:1], v[128:129]
	v_add_f64 v[136:137], v[172:173], v[136:137]
	v_add_f64 v[138:139], v[174:175], v[138:139]
	v_add_f64 v[172:173], v[202:203], -v[206:207]
	v_add_f64 v[174:175], v[202:203], v[206:207]
	v_fma_f64 v[206:207], v[210:211], s[24:25], v[170:171]
	v_fma_f64 v[170:171], v[210:211], s[24:25], -v[170:171]
	v_fma_f64 v[226:227], v[208:209], s[40:41], v[130:131]
	v_add_f64 v[144:145], v[182:183], v[144:145]
	v_add_f64 v[146:147], v[214:215], v[146:147]
	v_fma_f64 v[128:129], v[210:211], s[0:1], -v[128:129]
	v_fma_f64 v[130:131], v[208:209], s[2:3], v[130:131]
	v_add_f64 v[182:183], v[200:201], v[204:205]
	v_add_f64 v[200:201], v[200:201], -v[204:205]
	v_mul_f64 v[202:203], v[172:173], s[30:31]
	v_mul_f64 v[204:205], v[174:175], s[24:25]
	v_fma_f64 v[214:215], v[208:209], s[52:53], v[180:181]
	v_fma_f64 v[180:181], v[208:209], s[30:31], v[180:181]
	v_add_f64 v[86:87], v[170:171], v[86:87]
	v_mul_f64 v[170:171], v[172:173], s[44:45]
	v_add_f64 v[78:79], v[128:129], v[78:79]
	v_add_f64 v[82:83], v[130:131], v[82:83]
	v_fma_f64 v[128:129], v[182:183], s[24:25], v[202:203]
	v_fma_f64 v[130:131], v[200:201], s[52:53], v[204:205]
	v_add_f64 v[152:153], v[206:207], v[152:153]
	v_add_f64 v[76:77], v[180:181], v[76:77]
	v_mul_f64 v[180:181], v[174:175], s[20:21]
	v_fma_f64 v[206:207], v[182:183], s[20:21], v[170:171]
	v_fma_f64 v[170:171], v[182:183], s[20:21], -v[170:171]
	v_add_f64 v[154:155], v[214:215], v[154:155]
	v_add_f64 v[102:103], v[128:129], v[102:103]
	;; [unrolled: 1-line block ×3, first 2 shown]
	v_fma_f64 v[128:129], v[182:183], s[24:25], -v[202:203]
	v_fma_f64 v[130:131], v[200:201], s[30:31], v[204:205]
	v_mul_f64 v[202:203], v[172:173], s[2:3]
	v_mul_f64 v[204:205], v[174:175], s[0:1]
	v_fma_f64 v[208:209], v[200:201], s[26:27], v[180:181]
	v_fma_f64 v[180:181], v[200:201], s[44:45], v[180:181]
	v_add_f64 v[80:81], v[170:171], v[80:81]
	v_mul_f64 v[170:171], v[172:173], s[36:37]
	v_add_f64 v[84:85], v[128:129], v[84:85]
	v_add_f64 v[106:107], v[130:131], v[106:107]
	v_fma_f64 v[128:129], v[182:183], s[0:1], v[202:203]
	v_fma_f64 v[130:131], v[200:201], s[40:41], v[204:205]
	v_add_f64 v[124:125], v[206:207], v[124:125]
	v_add_f64 v[96:97], v[180:181], v[96:97]
	v_mul_f64 v[180:181], v[174:175], s[28:29]
	v_fma_f64 v[206:207], v[182:183], s[28:29], v[170:171]
	v_fma_f64 v[170:171], v[182:183], s[28:29], -v[170:171]
	v_add_f64 v[126:127], v[208:209], v[126:127]
	v_add_f64 v[112:113], v[128:129], v[112:113]
	;; [unrolled: 1-line block ×3, first 2 shown]
	v_fma_f64 v[128:129], v[182:183], s[0:1], -v[202:203]
	v_fma_f64 v[130:131], v[200:201], s[2:3], v[204:205]
	v_mul_f64 v[202:203], v[172:173], s[54:55]
	v_mul_f64 v[204:205], v[174:175], s[18:19]
	v_fma_f64 v[208:209], v[200:201], s[46:47], v[180:181]
	v_fma_f64 v[180:181], v[200:201], s[36:37], v[180:181]
	v_add_f64 v[98:99], v[170:171], v[98:99]
	v_mul_f64 v[170:171], v[172:173], s[12:13]
	v_add_f64 v[116:117], v[128:129], v[116:117]
	v_add_f64 v[118:119], v[130:131], v[118:119]
	v_fma_f64 v[128:129], v[182:183], s[18:19], v[202:203]
	v_fma_f64 v[130:131], v[200:201], s[22:23], v[204:205]
	v_add_f64 v[148:149], v[206:207], v[148:149]
	v_add_f64 v[100:101], v[180:181], v[100:101]
	v_mul_f64 v[180:181], v[174:175], s[6:7]
	v_fma_f64 v[206:207], v[182:183], s[6:7], v[170:171]
	v_fma_f64 v[170:171], v[182:183], s[6:7], -v[170:171]
	v_add_f64 v[150:151], v[208:209], v[150:151]
	v_add_f64 v[120:121], v[128:129], v[120:121]
	;; [unrolled: 1-line block ×3, first 2 shown]
	v_mul_f64 v[128:129], v[172:173], s[38:39]
	v_mul_f64 v[130:131], v[174:175], s[34:35]
	v_fma_f64 v[208:209], v[200:201], s[48:49], v[180:181]
	v_fma_f64 v[180:181], v[200:201], s[12:13], v[180:181]
	v_add_f64 v[136:137], v[170:171], v[136:137]
	v_add_f64 v[170:171], v[162:163], -v[178:179]
	v_add_f64 v[162:163], v[162:163], v[178:179]
	v_fma_f64 v[202:203], v[182:183], s[18:19], -v[202:203]
	v_fma_f64 v[204:205], v[200:201], s[54:55], v[204:205]
	v_fma_f64 v[210:211], v[182:183], s[34:35], v[128:129]
	;; [unrolled: 1-line block ×3, first 2 shown]
	v_add_f64 v[138:139], v[180:181], v[138:139]
	v_mul_f64 v[172:173], v[172:173], s[42:43]
	v_mul_f64 v[174:175], v[174:175], s[14:15]
	v_fma_f64 v[128:129], v[182:183], s[34:35], -v[128:129]
	v_fma_f64 v[130:131], v[200:201], s[38:39], v[130:131]
	v_add_f64 v[178:179], v[160:161], v[176:177]
	v_add_f64 v[160:161], v[160:161], -v[176:177]
	v_mul_f64 v[176:177], v[170:171], s[36:37]
	v_mul_f64 v[180:181], v[162:163], s[28:29]
	v_add_f64 v[144:145], v[202:203], v[144:145]
	v_add_f64 v[146:147], v[204:205], v[146:147]
	v_fma_f64 v[202:203], v[182:183], s[14:15], v[172:173]
	v_fma_f64 v[204:205], v[200:201], s[16:17], v[174:175]
	v_fma_f64 v[172:173], v[182:183], s[14:15], -v[172:173]
	v_fma_f64 v[174:175], v[200:201], s[42:43], v[174:175]
	v_add_f64 v[78:79], v[128:129], v[78:79]
	v_add_f64 v[82:83], v[130:131], v[82:83]
	v_fma_f64 v[128:129], v[178:179], s[28:29], v[176:177]
	v_fma_f64 v[130:131], v[160:161], s[46:47], v[180:181]
	v_add_f64 v[164:165], v[224:225], v[164:165]
	v_add_f64 v[166:167], v[226:227], v[166:167]
	v_add_f64 v[86:87], v[172:173], v[86:87]
	v_add_f64 v[76:77], v[174:175], v[76:77]
	v_mul_f64 v[172:173], v[170:171], s[42:43]
	v_mul_f64 v[174:175], v[162:163], s[14:15]
	v_add_f64 v[102:103], v[128:129], v[102:103]
	v_add_f64 v[104:105], v[130:131], v[104:105]
	v_fma_f64 v[128:129], v[178:179], s[28:29], -v[176:177]
	v_fma_f64 v[130:131], v[160:161], s[36:37], v[180:181]
	v_mul_f64 v[176:177], v[170:171], s[22:23]
	v_mul_f64 v[180:181], v[162:163], s[18:19]
	v_fma_f64 v[182:183], v[178:179], s[14:15], v[172:173]
	v_fma_f64 v[200:201], v[160:161], s[16:17], v[174:175]
	v_fma_f64 v[172:173], v[178:179], s[14:15], -v[172:173]
	v_fma_f64 v[174:175], v[160:161], s[42:43], v[174:175]
	v_add_f64 v[84:85], v[128:129], v[84:85]
	v_add_f64 v[106:107], v[130:131], v[106:107]
	v_fma_f64 v[128:129], v[178:179], s[18:19], v[176:177]
	v_fma_f64 v[130:131], v[160:161], s[54:55], v[180:181]
	v_add_f64 v[124:125], v[182:183], v[124:125]
	v_add_f64 v[126:127], v[200:201], v[126:127]
	v_add_f64 v[172:173], v[172:173], v[80:81]
	v_add_f64 v[96:97], v[174:175], v[96:97]
	v_mul_f64 v[80:81], v[170:171], s[52:53]
	v_mul_f64 v[174:175], v[162:163], s[24:25]
	v_add_f64 v[112:113], v[128:129], v[112:113]
	v_add_f64 v[114:115], v[130:131], v[114:115]
	v_fma_f64 v[128:129], v[178:179], s[18:19], -v[176:177]
	v_fma_f64 v[130:131], v[160:161], s[22:23], v[180:181]
	v_mul_f64 v[176:177], v[170:171], s[2:3]
	v_mul_f64 v[180:181], v[162:163], s[0:1]
	;; [unrolled: 20-line block ×3, first 2 shown]
	v_add_f64 v[166:167], v[214:215], v[166:167]
	v_add_f64 v[150:151], v[200:201], v[150:151]
	v_fma_f64 v[180:181], v[178:179], s[34:35], v[80:81]
	v_fma_f64 v[200:201], v[160:161], s[50:51], v[98:99]
	v_fma_f64 v[80:81], v[178:179], s[34:35], -v[80:81]
	v_fma_f64 v[98:99], v[160:161], s[38:39], v[98:99]
	v_add_f64 v[144:145], v[100:101], v[144:145]
	v_add_f64 v[128:129], v[128:129], v[146:147]
	v_fma_f64 v[100:101], v[178:179], s[6:7], v[130:131]
	v_fma_f64 v[146:147], v[160:161], s[12:13], v[176:177]
	v_add_f64 v[156:157], v[220:221], v[156:157]
	v_add_f64 v[168:169], v[222:223], v[168:169]
	;; [unrolled: 1-line block ×4, first 2 shown]
	v_mul_f64 v[80:81], v[170:171], s[26:27]
	v_mul_f64 v[98:99], v[162:163], s[20:21]
	v_add_f64 v[162:163], v[100:101], v[164:165]
	v_add_f64 v[146:147], v[146:147], v[166:167]
	v_add_f64 v[164:165], v[88:89], -v[90:91]
	v_add_f64 v[166:167], v[88:89], v[90:91]
	v_add_f64 v[156:157], v[206:207], v[156:157]
	;; [unrolled: 1-line block ×3, first 2 shown]
	v_fma_f64 v[88:89], v[178:179], s[6:7], -v[130:131]
	v_fma_f64 v[90:91], v[160:161], s[48:49], v[176:177]
	v_fma_f64 v[100:101], v[178:179], s[20:21], v[80:81]
	v_add_f64 v[170:171], v[72:73], v[74:75]
	v_add_f64 v[176:177], v[72:73], -v[74:75]
	v_mul_f64 v[72:73], v[164:165], s[38:39]
	v_mul_f64 v[74:75], v[166:167], s[34:35]
	v_add_f64 v[168:169], v[208:209], v[168:169]
	v_add_f64 v[154:155], v[204:205], v[154:155]
	v_add_f64 v[156:157], v[180:181], v[156:157]
	v_fma_f64 v[130:131], v[160:161], s[44:45], v[98:99]
	v_add_f64 v[180:181], v[88:89], v[78:79]
	v_add_f64 v[152:153], v[100:101], v[152:153]
	v_fma_f64 v[78:79], v[178:179], s[20:21], -v[80:81]
	v_fma_f64 v[80:81], v[160:161], s[26:27], v[98:99]
	v_fma_f64 v[88:89], v[176:177], s[50:51], v[74:75]
	v_fma_f64 v[100:101], v[170:171], s[34:35], -v[72:73]
	v_add_f64 v[168:169], v[200:201], v[168:169]
	v_add_f64 v[200:201], v[90:91], v[82:83]
	;; [unrolled: 1-line block ×3, first 2 shown]
	v_fma_f64 v[82:83], v[170:171], s[34:35], v[72:73]
	v_mul_f64 v[90:91], v[164:165], s[40:41]
	v_mul_f64 v[98:99], v[166:167], s[0:1]
	v_fma_f64 v[130:131], v[176:177], s[38:39], v[74:75]
	v_add_f64 v[178:179], v[80:81], v[76:77]
	v_add_f64 v[74:75], v[88:89], v[104:105]
	;; [unrolled: 1-line block ×3, first 2 shown]
	v_mul_f64 v[88:89], v[164:165], s[36:37]
	v_mul_f64 v[100:101], v[166:167], s[28:29]
	v_add_f64 v[160:161], v[78:79], v[86:87]
	v_add_f64 v[72:73], v[82:83], v[102:103]
	v_fma_f64 v[80:81], v[170:171], s[0:1], v[90:91]
	v_fma_f64 v[82:83], v[176:177], s[2:3], v[98:99]
	v_add_f64 v[78:79], v[130:131], v[106:107]
	v_fma_f64 v[84:85], v[170:171], s[0:1], -v[90:91]
	v_fma_f64 v[86:87], v[176:177], s[40:41], v[98:99]
	v_mul_f64 v[104:105], v[164:165], s[48:49]
	v_mul_f64 v[106:107], v[166:167], s[6:7]
	v_fma_f64 v[90:91], v[170:171], s[28:29], v[88:89]
	v_fma_f64 v[98:99], v[176:177], s[46:47], v[100:101]
	v_add_f64 v[80:81], v[80:81], v[124:125]
	v_fma_f64 v[100:101], v[176:177], s[36:37], v[100:101]
	v_add_f64 v[82:83], v[82:83], v[126:127]
	v_add_f64 v[86:87], v[86:87], v[96:97]
	v_fma_f64 v[96:97], v[170:171], s[28:29], -v[88:89]
	v_fma_f64 v[102:103], v[170:171], s[6:7], v[104:105]
	v_fma_f64 v[124:125], v[176:177], s[12:13], v[106:107]
	v_add_f64 v[88:89], v[90:91], v[112:113]
	v_add_f64 v[90:91], v[98:99], v[114:115]
	v_mul_f64 v[112:113], v[164:165], s[30:31]
	v_mul_f64 v[114:115], v[166:167], s[24:25]
	v_add_f64 v[98:99], v[100:101], v[118:119]
	v_add_f64 v[96:97], v[96:97], v[116:117]
	v_add_f64 v[100:101], v[102:103], v[148:149]
	v_add_f64 v[102:103], v[124:125], v[150:151]
	v_mul_f64 v[124:125], v[164:165], s[42:43]
	v_mul_f64 v[126:127], v[166:167], s[14:15]
	v_fma_f64 v[116:117], v[170:171], s[24:25], v[112:113]
	v_fma_f64 v[118:119], v[176:177], s[52:53], v[114:115]
	v_fma_f64 v[130:131], v[170:171], s[24:25], -v[112:113]
	v_fma_f64 v[148:149], v[176:177], s[30:31], v[114:115]
	v_fma_f64 v[104:105], v[170:171], s[6:7], -v[104:105]
	v_fma_f64 v[106:107], v[176:177], s[48:49], v[106:107]
	v_add_f64 v[84:85], v[84:85], v[172:173]
	v_add_f64 v[112:113], v[116:117], v[120:121]
	v_add_f64 v[114:115], v[118:119], v[122:123]
	v_fma_f64 v[120:121], v[170:171], s[14:15], v[124:125]
	v_fma_f64 v[122:123], v[176:177], s[16:17], v[126:127]
	v_add_f64 v[116:117], v[130:131], v[144:145]
	v_add_f64 v[118:119], v[148:149], v[128:129]
	v_fma_f64 v[124:125], v[170:171], s[14:15], -v[124:125]
	v_fma_f64 v[126:127], v[176:177], s[42:43], v[126:127]
	v_mul_f64 v[128:129], v[164:165], s[26:27]
	v_mul_f64 v[130:131], v[166:167], s[20:21]
	;; [unrolled: 1-line block ×4, first 2 shown]
	v_add_f64 v[120:121], v[120:121], v[156:157]
	v_add_f64 v[122:123], v[122:123], v[168:169]
	v_add_f64 v[124:125], v[124:125], v[136:137]
	v_add_f64 v[126:127], v[126:127], v[138:139]
	v_fma_f64 v[136:137], v[170:171], s[20:21], v[128:129]
	v_fma_f64 v[138:139], v[176:177], s[44:45], v[130:131]
	v_fma_f64 v[150:151], v[170:171], s[20:21], -v[128:129]
	v_fma_f64 v[156:157], v[176:177], s[26:27], v[130:131]
	v_fma_f64 v[164:165], v[170:171], s[18:19], v[144:145]
	;; [unrolled: 1-line block ×3, first 2 shown]
	v_fma_f64 v[168:169], v[170:171], s[18:19], -v[144:145]
	v_fma_f64 v[170:171], v[176:177], s[54:55], v[148:149]
	v_add_f64 v[104:105], v[104:105], v[182:183]
	v_add_f64 v[106:107], v[106:107], v[174:175]
	;; [unrolled: 1-line block ×10, first 2 shown]
	ds_write_b128 v158, v[0:3]
	ds_write_b128 v158, v[20:23] offset:112
	ds_write_b128 v158, v[28:31] offset:224
	;; [unrolled: 1-line block ×16, first 2 shown]
	ds_write_b128 v159, v[52:55]
	ds_write_b128 v159, v[72:75] offset:112
	ds_write_b128 v159, v[80:83] offset:224
	;; [unrolled: 1-line block ×16, first 2 shown]
	s_and_saveexec_b64 s[56:57], vcc
	s_cbranch_execz .LBB0_9
; %bb.8:
	buffer_load_dword v32, off, s[60:63], 0 offset:1840 ; 4-byte Folded Reload
	buffer_load_dword v33, off, s[60:63], 0 offset:1844 ; 4-byte Folded Reload
	;; [unrolled: 1-line block ×96, first 2 shown]
	v_mov_b32_e32 v36, v108
	buffer_load_dword v82, off, s[60:63], 0 offset:2016 ; 4-byte Folded Reload
	buffer_load_dword v83, off, s[60:63], 0 offset:2020 ; 4-byte Folded Reload
	;; [unrolled: 1-line block ×4, first 2 shown]
	v_mov_b32_e32 v37, v109
	v_mov_b32_e32 v38, v110
	;; [unrolled: 1-line block ×3, first 2 shown]
	buffer_load_dword v106, off, s[60:63], 0 offset:52 ; 4-byte Folded Reload
	buffer_load_dword v107, off, s[60:63], 0 offset:56 ; 4-byte Folded Reload
	;; [unrolled: 1-line block ×4, first 2 shown]
	v_mov_b32_e32 v40, v92
	buffer_load_dword v28, off, s[60:63], 0 offset:1824 ; 4-byte Folded Reload
	buffer_load_dword v29, off, s[60:63], 0 offset:1828 ; 4-byte Folded Reload
	;; [unrolled: 1-line block ×4, first 2 shown]
	v_mov_b32_e32 v41, v93
	v_mov_b32_e32 v42, v94
	;; [unrolled: 1-line block ×3, first 2 shown]
	buffer_load_dword v92, off, s[60:63], 0 offset:36 ; 4-byte Folded Reload
	buffer_load_dword v93, off, s[60:63], 0 offset:40 ; 4-byte Folded Reload
	;; [unrolled: 1-line block ×12, first 2 shown]
	s_waitcnt vmcnt(62)
	v_mul_f64 v[0:1], v[34:35], v[200:201]
	v_mul_f64 v[2:3], v[138:139], v[204:205]
	;; [unrolled: 1-line block ×7, first 2 shown]
	s_waitcnt vmcnt(58)
	v_mul_f64 v[18:19], v[114:115], v[164:165]
	v_fma_f64 v[208:209], v[32:33], v[198:199], v[0:1]
	v_fma_f64 v[206:207], v[136:137], v[202:203], v[2:3]
	v_mul_f64 v[0:1], v[80:81], v[154:155]
	s_waitcnt vmcnt(56)
	v_mul_f64 v[2:3], v[114:115], v[166:167]
	v_fma_f64 v[34:35], v[102:103], v[180:181], v[6:7]
	v_fma_f64 v[56:57], v[74:75], v[168:169], v[10:11]
	v_fma_f64 v[198:199], v[122:123], v[172:173], v[12:13]
	s_waitcnt vmcnt(48)
	v_mul_f64 v[10:11], v[22:23], v[150:151]
	s_waitcnt vmcnt(40)
	v_mul_f64 v[12:13], v[128:129], v[158:159]
	;; [unrolled: 2-line block ×3, first 2 shown]
	v_fma_f64 v[62:63], v[78:79], v[152:153], v[0:1]
	v_fma_f64 v[44:45], v[112:113], v[164:165], v[2:3]
	v_mul_f64 v[0:1], v[26:27], v[118:119]
	v_mul_f64 v[2:3], v[52:53], v[68:69]
	v_mul_f64 v[4:5], v[72:73], v[178:179]
	v_fma_f64 v[88:89], v[20:21], v[148:149], v[10:11]
	v_fma_f64 v[54:55], v[126:127], v[156:157], v[12:13]
	s_waitcnt vmcnt(8)
	v_mul_f64 v[10:11], v[30:31], v[94:95]
	s_waitcnt vmcnt(0)
	v_mul_f64 v[12:13], v[60:61], v[146:147]
	v_fma_f64 v[48:49], v[82:83], v[106:107], v[14:15]
	v_fma_f64 v[90:91], v[24:25], v[116:117], v[0:1]
	;; [unrolled: 1-line block ×3, first 2 shown]
	v_mul_f64 v[0:1], v[52:53], v[66:67]
	v_mul_f64 v[2:3], v[84:85], v[106:107]
	buffer_load_dword v64, off, s[60:63], 0 offset:1984 ; 4-byte Folded Reload
	buffer_load_dword v65, off, s[60:63], 0 offset:1988 ; 4-byte Folded Reload
	;; [unrolled: 1-line block ×8, first 2 shown]
	s_nop 0
	buffer_store_dword v34, off, s[60:63], 0 offset:868 ; 4-byte Folded Spill
	s_nop 0
	buffer_store_dword v35, off, s[60:63], 0 offset:872 ; 4-byte Folded Spill
	v_fma_f64 v[98:99], v[28:29], v[92:93], v[10:11]
	v_fma_f64 v[52:53], v[58:59], v[144:145], v[12:13]
	v_mul_f64 v[10:11], v[30:31], v[92:93]
	v_mul_f64 v[12:13], v[60:61], v[144:145]
	v_add_f64 v[234:235], v[100:101], -v[48:49]
	v_fma_f64 v[162:163], v[50:51], v[68:69], -v[0:1]
	v_fma_f64 v[50:51], v[82:83], v[108:109], -v[2:3]
	v_mul_f64 v[0:1], v[26:27], v[116:117]
	v_mov_b32_e32 v92, v206
	v_add_f64 v[232:233], v[98:99], -v[52:53]
	v_fma_f64 v[120:121], v[28:29], v[94:95], -v[10:11]
	v_fma_f64 v[58:59], v[58:59], v[146:147], -v[12:13]
	v_mul_f64 v[10:11], v[234:235], s[38:39]
	v_mov_b32_e32 v94, v208
	v_mul_f64 v[12:13], v[22:23], v[148:149]
	v_fma_f64 v[118:119], v[24:25], v[118:119], -v[0:1]
	v_mov_b32_e32 v93, v207
	v_mul_f64 v[0:1], v[232:233], s[40:41]
	v_mov_b32_e32 v95, v209
	v_add_f64 v[82:83], v[120:121], v[58:59]
	buffer_store_dword v92, off, s[60:63], 0 offset:876 ; 4-byte Folded Spill
	s_nop 0
	buffer_store_dword v93, off, s[60:63], 0 offset:880 ; 4-byte Folded Spill
	buffer_store_dword v94, off, s[60:63], 0 offset:884 ; 4-byte Folded Spill
	s_nop 0
	buffer_store_dword v95, off, s[60:63], 0 offset:888 ; 4-byte Folded Spill
	v_add_f64 v[130:131], v[88:89], -v[54:55]
	v_fma_f64 v[116:117], v[20:21], v[150:151], -v[12:13]
	v_mul_f64 v[6:7], v[76:77], v[168:169]
	v_mul_f64 v[20:21], v[124:125], v[172:173]
	v_fma_f64 v[114:115], v[78:79], v[154:155], -v[16:17]
	v_fma_f64 v[68:69], v[112:113], v[166:167], -v[18:19]
	v_fma_f64 v[46:47], v[70:71], v[176:177], v[4:5]
	v_mul_f64 v[4:5], v[72:73], v[176:177]
	v_mul_f64 v[16:17], v[130:131], s[48:49]
	v_add_f64 v[176:177], v[98:99], v[52:53]
	v_fma_f64 v[112:113], v[74:75], v[170:171], -v[6:7]
	v_add_f64 v[228:229], v[88:89], v[54:55]
	v_add_f64 v[226:227], v[62:63], v[44:45]
	v_add_f64 v[76:77], v[114:115], v[68:69]
	v_add_f64 v[214:215], v[114:115], -v[68:69]
	v_fma_f64 v[106:107], v[70:71], v[178:179], -v[4:5]
	v_add_f64 v[178:179], v[100:101], v[48:49]
	v_add_f64 v[224:225], v[56:57], v[198:199]
	v_mul_f64 v[150:151], v[130:131], s[52:53]
	v_mov_b32_e32 v108, v192
	v_mov_b32_e32 v109, v193
	;; [unrolled: 1-line block ×4, first 2 shown]
	v_add_f64 v[100:101], v[216:217], v[100:101]
	v_add_f64 v[98:99], v[100:101], v[98:99]
	v_add_f64 v[124:125], v[46:47], -v[34:35]
	s_waitcnt vmcnt(6)
	v_mul_f64 v[14:15], v[66:67], v[86:87]
	v_mul_f64 v[2:3], v[66:67], v[84:85]
	v_add_f64 v[222:223], v[46:47], v[34:35]
	v_fma_f64 v[60:61], v[64:65], v[84:85], v[14:15]
	v_add_f64 v[84:85], v[162:163], v[50:51]
	v_mul_f64 v[14:15], v[128:129], v[156:157]
	v_fma_f64 v[64:65], v[64:65], v[86:87], -v[2:3]
	v_add_f64 v[128:129], v[62:63], -v[44:45]
	v_fma_f64 v[86:87], v[122:123], v[174:175], -v[20:21]
	v_add_f64 v[160:161], v[90:91], -v[60:61]
	v_fma_f64 v[2:3], v[84:85], s[34:35], v[10:11]
	v_fma_f64 v[66:67], v[126:127], v[158:159], -v[14:15]
	v_add_f64 v[80:81], v[118:119], v[64:65]
	v_fma_f64 v[14:15], v[82:83], s[0:1], v[0:1]
	v_add_f64 v[126:127], v[56:57], -v[198:199]
	v_mul_f64 v[6:7], v[128:129], s[30:31]
	v_add_f64 v[74:75], v[112:113], v[86:87]
	v_mul_f64 v[12:13], v[160:161], s[36:37]
	v_add_f64 v[2:3], v[218:219], v[2:3]
	v_add_f64 v[78:79], v[116:117], v[66:67]
	v_fma_f64 v[10:11], v[84:85], s[34:35], -v[10:11]
	v_add_f64 v[230:231], v[116:117], -v[66:67]
	v_mul_f64 v[4:5], v[126:127], s[42:43]
	v_add_f64 v[206:207], v[90:91], v[60:61]
	v_fma_f64 v[0:1], v[82:83], s[0:1], -v[0:1]
	v_fma_f64 v[18:19], v[80:81], s[28:29], v[12:13]
	v_add_f64 v[2:3], v[14:15], v[2:3]
	v_mul_f64 v[14:15], v[104:105], v[180:181]
	v_fma_f64 v[20:21], v[78:79], s[6:7], v[16:17]
	v_fma_f64 v[104:105], v[32:33], v[200:201], -v[8:9]
	v_mul_f64 v[8:9], v[124:125], s[26:27]
	v_add_f64 v[200:201], v[120:121], -v[58:59]
	v_add_f64 v[10:11], v[218:219], v[10:11]
	v_mul_f64 v[30:31], v[230:231], s[48:49]
	v_add_f64 v[2:3], v[18:19], v[2:3]
	v_mul_f64 v[18:19], v[138:139], v[202:203]
	v_fma_f64 v[96:97], v[102:103], v[182:183], -v[14:15]
	v_fma_f64 v[14:15], v[76:77], s[24:25], v[6:7]
	v_add_f64 v[202:203], v[118:119], -v[64:65]
	v_add_f64 v[122:123], v[94:95], -v[92:93]
	v_fma_f64 v[12:13], v[80:81], s[28:29], -v[12:13]
	v_add_f64 v[0:1], v[0:1], v[10:11]
	v_add_f64 v[2:3], v[20:21], v[2:3]
	v_fma_f64 v[102:103], v[136:137], v[204:205], -v[18:19]
	v_add_f64 v[72:73], v[106:107], v[96:97]
	v_fma_f64 v[18:19], v[74:75], s[14:15], v[4:5]
	v_add_f64 v[204:205], v[162:163], -v[50:51]
	v_mul_f64 v[26:27], v[202:203], s[36:37]
	v_add_f64 v[136:137], v[112:113], -v[86:87]
	v_mul_f64 v[10:11], v[214:215], s[30:31]
	v_add_f64 v[2:3], v[14:15], v[2:3]
	v_mul_f64 v[14:15], v[122:123], s[54:55]
	v_fma_f64 v[20:21], v[72:73], s[20:21], v[8:9]
	v_add_f64 v[70:71], v[104:105], v[102:103]
	v_mul_f64 v[22:23], v[204:205], s[38:39]
	v_fma_f64 v[32:33], v[206:207], s[28:29], -v[26:27]
	v_fma_f64 v[26:27], v[206:207], s[28:29], v[26:27]
	v_add_f64 v[210:211], v[106:107], -v[96:97]
	v_add_f64 v[2:3], v[18:19], v[2:3]
	v_fma_f64 v[16:17], v[78:79], s[6:7], -v[16:17]
	v_add_f64 v[0:1], v[12:13], v[0:1]
	v_mul_f64 v[12:13], v[136:137], s[42:43]
	v_fma_f64 v[24:25], v[178:179], s[34:35], -v[22:23]
	v_fma_f64 v[22:23], v[178:179], s[34:35], v[22:23]
	v_fma_f64 v[18:19], v[70:71], s[18:19], v[14:15]
	v_mul_f64 v[34:35], v[160:161], s[22:23]
	v_add_f64 v[2:3], v[20:21], v[2:3]
	v_mul_f64 v[20:21], v[200:201], s[40:41]
	v_add_f64 v[0:1], v[16:17], v[0:1]
	;; [unrolled: 2-line block ×3, first 2 shown]
	v_add_f64 v[22:23], v[216:217], v[22:23]
	v_mul_f64 v[144:145], v[200:201], s[42:43]
	v_fma_f64 v[6:7], v[76:77], s[24:25], -v[6:7]
	v_add_f64 v[2:3], v[18:19], v[2:3]
	v_fma_f64 v[28:29], v[176:177], s[0:1], -v[20:21]
	v_fma_f64 v[20:21], v[176:177], s[0:1], v[20:21]
	v_mul_f64 v[18:19], v[234:235], s[36:37]
	v_fma_f64 v[152:153], v[80:81], s[18:19], v[34:35]
	v_mul_f64 v[154:155], v[202:203], s[22:23]
	v_fma_f64 v[156:157], v[176:177], s[14:15], -v[144:145]
	v_fma_f64 v[4:5], v[74:75], s[14:15], -v[4:5]
	v_add_f64 v[0:1], v[6:7], v[0:1]
	v_add_f64 v[24:25], v[28:29], v[24:25]
	v_fma_f64 v[28:29], v[228:229], s[6:7], -v[30:31]
	v_add_f64 v[20:21], v[20:21], v[22:23]
	v_fma_f64 v[30:31], v[228:229], s[6:7], v[30:31]
	v_mul_f64 v[158:159], v[230:231], s[52:53]
	v_fma_f64 v[164:165], v[206:207], s[18:19], -v[154:155]
	v_fma_f64 v[34:35], v[80:81], s[18:19], -v[34:35]
	v_fma_f64 v[144:145], v[176:177], s[14:15], v[144:145]
	v_add_f64 v[22:23], v[32:33], v[24:25]
	v_fma_f64 v[24:25], v[226:227], s[24:25], -v[10:11]
	v_add_f64 v[20:21], v[26:27], v[20:21]
	v_fma_f64 v[26:27], v[224:225], s[14:15], -v[12:13]
	v_fma_f64 v[10:11], v[226:227], s[24:25], v[10:11]
	v_fma_f64 v[12:13], v[224:225], s[14:15], v[12:13]
	v_fma_f64 v[8:9], v[72:73], s[20:21], -v[8:9]
	v_add_f64 v[0:1], v[4:5], v[0:1]
	v_add_f64 v[22:23], v[28:29], v[22:23]
	v_fma_f64 v[154:155], v[206:207], s[18:19], v[154:155]
	v_add_f64 v[20:21], v[30:31], v[20:21]
	v_fma_f64 v[30:31], v[84:85], s[28:29], v[18:19]
	v_fma_f64 v[18:19], v[84:85], s[28:29], -v[18:19]
	v_add_f64 v[208:209], v[104:105], -v[102:103]
	v_add_f64 v[220:221], v[94:95], v[92:93]
	v_add_f64 v[8:9], v[8:9], v[0:1]
	;; [unrolled: 1-line block ×3, first 2 shown]
	v_fma_f64 v[24:25], v[222:223], s[20:21], -v[16:17]
	v_add_f64 v[10:11], v[10:11], v[20:21]
	v_add_f64 v[30:31], v[218:219], v[30:31]
	v_fma_f64 v[16:17], v[222:223], s[20:21], v[16:17]
	v_add_f64 v[18:19], v[218:219], v[18:19]
	v_mul_f64 v[0:1], v[124:125], s[48:49]
	v_mul_f64 v[6:7], v[208:209], s[54:55]
	v_add_f64 v[20:21], v[26:27], v[22:23]
	v_mul_f64 v[26:27], v[232:233], s[42:43]
	v_add_f64 v[10:11], v[12:13], v[10:11]
	v_mul_f64 v[22:23], v[122:123], s[26:27]
	v_fma_f64 v[14:15], v[70:71], s[18:19], -v[14:15]
	v_mul_f64 v[166:167], v[230:231], s[36:37]
	v_fma_f64 v[28:29], v[72:73], s[6:7], v[0:1]
	v_fma_f64 v[4:5], v[220:221], s[18:19], -v[6:7]
	v_add_f64 v[12:13], v[24:25], v[20:21]
	v_mul_f64 v[24:25], v[204:205], s[36:37]
	v_fma_f64 v[148:149], v[82:83], s[14:15], v[26:27]
	v_fma_f64 v[26:27], v[82:83], s[14:15], -v[26:27]
	v_add_f64 v[16:17], v[16:17], v[10:11]
	v_mul_f64 v[10:11], v[128:129], s[2:3]
	v_mul_f64 v[20:21], v[126:127], s[38:39]
	v_fma_f64 v[6:7], v[220:221], s[18:19], v[6:7]
	v_fma_f64 v[0:1], v[72:73], s[6:7], -v[0:1]
	v_fma_f64 v[146:147], v[178:179], s[28:29], -v[24:25]
	v_add_f64 v[30:31], v[148:149], v[30:31]
	v_fma_f64 v[24:25], v[178:179], s[28:29], v[24:25]
	v_fma_f64 v[148:149], v[78:79], s[24:25], v[150:151]
	v_add_f64 v[18:19], v[26:27], v[18:19]
	v_fma_f64 v[138:139], v[76:77], s[0:1], v[10:11]
	v_fma_f64 v[150:151], v[78:79], s[24:25], -v[150:151]
	v_fma_f64 v[32:33], v[74:75], s[34:35], v[20:21]
	v_add_f64 v[146:147], v[216:217], v[146:147]
	v_add_f64 v[26:27], v[152:153], v[30:31]
	;; [unrolled: 1-line block ×3, first 2 shown]
	v_mul_f64 v[30:31], v[214:215], s[2:3]
	v_fma_f64 v[152:153], v[228:229], s[24:25], -v[158:159]
	v_add_f64 v[18:19], v[34:35], v[18:19]
	v_mul_f64 v[34:35], v[136:137], s[38:39]
	v_fma_f64 v[10:11], v[76:77], s[0:1], -v[10:11]
	v_add_f64 v[146:147], v[156:157], v[146:147]
	v_add_f64 v[26:27], v[148:149], v[26:27]
	;; [unrolled: 1-line block ×3, first 2 shown]
	v_fma_f64 v[148:149], v[226:227], s[0:1], -v[30:31]
	v_fma_f64 v[20:21], v[74:75], s[34:35], -v[20:21]
	v_add_f64 v[18:19], v[150:151], v[18:19]
	v_fma_f64 v[150:151], v[228:229], s[24:25], v[158:159]
	v_fma_f64 v[30:31], v[226:227], s[0:1], v[30:31]
	v_add_f64 v[146:147], v[164:165], v[146:147]
	v_add_f64 v[26:27], v[138:139], v[26:27]
	;; [unrolled: 1-line block ×3, first 2 shown]
	v_mul_f64 v[138:139], v[210:211], s[48:49]
	v_mul_f64 v[156:157], v[202:203], s[2:3]
	v_add_f64 v[10:11], v[10:11], v[18:19]
	v_mul_f64 v[238:239], v[128:129], s[48:49]
	v_mov_b32_e32 v92, v188
	v_add_f64 v[144:145], v[152:153], v[146:147]
	v_fma_f64 v[146:147], v[224:225], s[34:35], -v[34:35]
	v_add_f64 v[18:19], v[32:33], v[26:27]
	v_add_f64 v[24:25], v[150:151], v[24:25]
	v_mul_f64 v[26:27], v[208:209], s[26:27]
	v_fma_f64 v[32:33], v[222:223], s[6:7], -v[138:139]
	v_add_f64 v[10:11], v[20:21], v[10:11]
	v_fma_f64 v[20:21], v[70:71], s[20:21], v[22:23]
	v_add_f64 v[144:145], v[148:149], v[144:145]
	v_fma_f64 v[34:35], v[224:225], s[34:35], v[34:35]
	v_add_f64 v[18:19], v[28:29], v[18:19]
	v_add_f64 v[24:25], v[30:31], v[24:25]
	v_fma_f64 v[28:29], v[220:221], s[20:21], -v[26:27]
	v_mul_f64 v[148:149], v[160:161], s[2:3]
	v_mul_f64 v[152:153], v[130:131], s[36:37]
	v_fma_f64 v[168:169], v[206:207], s[0:1], -v[156:157]
	v_add_f64 v[144:145], v[146:147], v[144:145]
	v_fma_f64 v[22:23], v[70:71], s[20:21], -v[22:23]
	v_fma_f64 v[156:157], v[206:207], s[0:1], v[156:157]
	v_fma_f64 v[243:244], v[76:77], s[6:7], v[238:239]
	v_mov_b32_e32 v93, v189
	v_fma_f64 v[164:165], v[80:81], s[0:1], v[148:149]
	v_fma_f64 v[148:149], v[80:81], s[0:1], -v[148:149]
	v_mov_b32_e32 v94, v190
	v_add_f64 v[30:31], v[32:33], v[144:145]
	v_add_f64 v[32:33], v[0:1], v[10:11]
	;; [unrolled: 1-line block ×5, first 2 shown]
	v_fma_f64 v[12:13], v[222:223], s[6:7], v[138:139]
	v_add_f64 v[16:17], v[34:35], v[24:25]
	v_add_f64 v[6:7], v[20:21], v[18:19]
	v_mul_f64 v[18:19], v[234:235], s[30:31]
	v_add_f64 v[4:5], v[28:29], v[30:31]
	v_mul_f64 v[28:29], v[232:233], s[44:45]
	v_mul_f64 v[144:145], v[200:201], s[44:45]
	v_mul_f64 v[34:35], v[128:129], s[54:55]
	v_mul_f64 v[24:25], v[126:127], s[12:13]
	v_add_f64 v[12:13], v[12:13], v[16:17]
	v_mul_f64 v[16:17], v[204:205], s[30:31]
	v_fma_f64 v[30:31], v[84:85], s[24:25], v[18:19]
	v_fma_f64 v[18:19], v[84:85], s[24:25], -v[18:19]
	v_fma_f64 v[150:151], v[82:83], s[20:21], v[28:29]
	v_fma_f64 v[158:159], v[176:177], s[20:21], -v[144:145]
	v_fma_f64 v[28:29], v[82:83], s[20:21], -v[28:29]
	v_fma_f64 v[154:155], v[76:77], s[18:19], v[34:35]
	v_fma_f64 v[144:145], v[176:177], s[20:21], v[144:145]
	v_fma_f64 v[146:147], v[178:179], s[24:25], -v[16:17]
	v_add_f64 v[30:31], v[218:219], v[30:31]
	v_fma_f64 v[16:17], v[178:179], s[24:25], v[16:17]
	v_add_f64 v[18:19], v[218:219], v[18:19]
	v_mul_f64 v[20:21], v[124:125], s[38:39]
	v_fma_f64 v[138:139], v[74:75], s[6:7], v[24:25]
	v_add_f64 v[14:15], v[22:23], v[32:33]
	v_fma_f64 v[22:23], v[220:221], s[20:21], v[26:27]
	v_add_f64 v[146:147], v[216:217], v[146:147]
	v_add_f64 v[30:31], v[150:151], v[30:31]
	v_fma_f64 v[150:151], v[78:79], s[28:29], v[152:153]
	v_add_f64 v[16:17], v[216:217], v[16:17]
	v_add_f64 v[18:19], v[28:29], v[18:19]
	v_mul_f64 v[26:27], v[122:123], s[42:43]
	v_fma_f64 v[32:33], v[72:73], s[34:35], v[20:21]
	v_fma_f64 v[34:35], v[76:77], s[18:19], -v[34:35]
	v_add_f64 v[146:147], v[158:159], v[146:147]
	v_add_f64 v[30:31], v[164:165], v[30:31]
	v_mul_f64 v[158:159], v[214:215], s[54:55]
	v_fma_f64 v[164:165], v[228:229], s[28:29], -v[166:167]
	v_add_f64 v[16:17], v[144:145], v[16:17]
	v_add_f64 v[18:19], v[148:149], v[18:19]
	v_mul_f64 v[148:149], v[210:211], s[38:39]
	;; [unrolled: 4-line block ×3, first 2 shown]
	v_fma_f64 v[150:151], v[226:227], s[18:19], -v[158:159]
	v_add_f64 v[16:17], v[156:157], v[16:17]
	v_fma_f64 v[20:21], v[72:73], s[34:35], -v[20:21]
	v_add_f64 v[12:13], v[22:23], v[12:13]
	v_fma_f64 v[22:23], v[222:223], s[34:35], v[148:149]
	v_add_f64 v[144:145], v[164:165], v[146:147]
	v_fma_f64 v[146:147], v[78:79], s[28:29], -v[152:153]
	v_add_f64 v[28:29], v[154:155], v[28:29]
	v_fma_f64 v[152:153], v[224:225], s[6:7], -v[30:31]
	v_fma_f64 v[154:155], v[228:229], s[28:29], v[166:167]
	v_fma_f64 v[30:31], v[224:225], s[6:7], v[30:31]
	v_mul_f64 v[156:157], v[202:203], s[48:49]
	v_mul_f64 v[166:167], v[230:231], s[16:17]
	v_add_f64 v[144:145], v[150:151], v[144:145]
	v_add_f64 v[18:19], v[146:147], v[18:19]
	;; [unrolled: 1-line block ×3, first 2 shown]
	v_mul_f64 v[138:139], v[208:209], s[42:43]
	v_fma_f64 v[146:147], v[222:223], s[34:35], -v[148:149]
	v_fma_f64 v[150:151], v[226:227], s[18:19], v[158:159]
	v_add_f64 v[16:17], v[154:155], v[16:17]
	v_fma_f64 v[168:169], v[206:207], s[6:7], -v[156:157]
	v_add_f64 v[144:145], v[152:153], v[144:145]
	v_add_f64 v[18:19], v[34:35], v[18:19]
	v_fma_f64 v[34:35], v[70:71], s[14:15], v[26:27]
	v_add_f64 v[28:29], v[32:33], v[28:29]
	v_fma_f64 v[32:33], v[220:221], s[14:15], -v[138:139]
	v_mul_f64 v[152:153], v[130:131], s[16:17]
	v_add_f64 v[16:17], v[150:151], v[16:17]
	v_fma_f64 v[170:171], v[228:229], s[14:15], -v[166:167]
	v_add_f64 v[144:145], v[146:147], v[144:145]
	v_add_f64 v[24:25], v[24:25], v[18:19]
	v_mul_f64 v[146:147], v[200:201], s[46:47]
	v_add_f64 v[18:19], v[34:35], v[28:29]
	v_mul_f64 v[28:29], v[234:235], s[26:27]
	v_fma_f64 v[34:35], v[220:221], s[14:15], v[138:139]
	v_add_f64 v[30:31], v[30:31], v[16:17]
	v_fma_f64 v[164:165], v[78:79], s[14:15], v[152:153]
	v_add_f64 v[16:17], v[32:33], v[144:145]
	v_add_f64 v[20:21], v[20:21], v[24:25]
	v_mul_f64 v[24:25], v[204:205], s[26:27]
	v_mul_f64 v[32:33], v[232:233], s[46:47]
	v_fma_f64 v[138:139], v[84:85], s[20:21], v[28:29]
	v_fma_f64 v[28:29], v[84:85], s[20:21], -v[28:29]
	v_add_f64 v[22:23], v[22:23], v[30:31]
	v_mul_f64 v[30:31], v[160:161], s[48:49]
	v_fma_f64 v[158:159], v[176:177], s[28:29], -v[146:147]
	v_fma_f64 v[152:153], v[78:79], s[14:15], -v[152:153]
	;; [unrolled: 1-line block ×3, first 2 shown]
	v_fma_f64 v[150:151], v[82:83], s[28:29], v[32:33]
	v_add_f64 v[138:139], v[218:219], v[138:139]
	v_fma_f64 v[32:33], v[82:83], s[28:29], -v[32:33]
	v_add_f64 v[28:29], v[218:219], v[28:29]
	v_fma_f64 v[154:155], v[80:81], s[6:7], v[30:31]
	v_fma_f64 v[30:31], v[80:81], s[6:7], -v[30:31]
	v_fma_f64 v[24:25], v[178:179], s[20:21], v[24:25]
	v_add_f64 v[148:149], v[216:217], v[148:149]
	v_mul_f64 v[144:145], v[122:123], s[30:31]
	v_add_f64 v[138:139], v[150:151], v[138:139]
	v_mul_f64 v[150:151], v[128:129], s[38:39]
	v_add_f64 v[28:29], v[32:33], v[28:29]
	v_fma_f64 v[146:147], v[176:177], s[28:29], v[146:147]
	v_fma_f64 v[156:157], v[206:207], s[6:7], v[156:157]
	v_add_f64 v[24:25], v[216:217], v[24:25]
	v_add_f64 v[148:149], v[158:159], v[148:149]
	v_mul_f64 v[158:159], v[214:215], s[38:39]
	v_add_f64 v[32:33], v[154:155], v[138:139]
	v_mul_f64 v[138:139], v[126:127], s[54:55]
	v_add_f64 v[28:29], v[30:31], v[28:29]
	v_fma_f64 v[154:155], v[76:77], s[34:35], v[150:151]
	v_fma_f64 v[150:151], v[76:77], s[34:35], -v[150:151]
	v_add_f64 v[146:147], v[146:147], v[24:25]
	v_add_f64 v[148:149], v[168:169], v[148:149]
	v_mul_f64 v[168:169], v[136:137], s[54:55]
	v_add_f64 v[30:31], v[164:165], v[32:33]
	v_mul_f64 v[32:33], v[124:125], s[2:3]
	v_add_f64 v[28:29], v[152:153], v[28:29]
	v_fma_f64 v[164:165], v[74:75], s[18:19], v[138:139]
	v_fma_f64 v[172:173], v[226:227], s[34:35], -v[158:159]
	v_fma_f64 v[138:139], v[74:75], s[18:19], -v[138:139]
	v_add_f64 v[148:149], v[170:171], v[148:149]
	v_fma_f64 v[170:171], v[224:225], s[18:19], -v[168:169]
	v_add_f64 v[30:31], v[154:155], v[30:31]
	v_fma_f64 v[152:153], v[72:73], s[0:1], v[32:33]
	v_add_f64 v[28:29], v[150:151], v[28:29]
	v_mul_f64 v[154:155], v[210:211], s[2:3]
	v_fma_f64 v[32:33], v[72:73], s[0:1], -v[32:33]
	v_mul_f64 v[150:151], v[208:209], s[30:31]
	v_add_f64 v[148:149], v[172:173], v[148:149]
	v_fma_f64 v[26:27], v[70:71], s[14:15], -v[26:27]
	v_add_f64 v[30:31], v[164:165], v[30:31]
	v_add_f64 v[24:25], v[34:35], v[22:23]
	v_add_f64 v[28:29], v[138:139], v[28:29]
	v_fma_f64 v[164:165], v[222:223], s[0:1], -v[154:155]
	v_fma_f64 v[138:139], v[70:71], s[24:25], v[144:145]
	v_fma_f64 v[144:145], v[70:71], s[24:25], -v[144:145]
	v_add_f64 v[148:149], v[170:171], v[148:149]
	v_mul_f64 v[34:35], v[234:235], s[22:23]
	v_add_f64 v[30:31], v[152:153], v[30:31]
	v_fma_f64 v[152:153], v[220:221], s[24:25], -v[150:151]
	v_add_f64 v[28:29], v[32:33], v[28:29]
	v_fma_f64 v[32:33], v[228:229], s[14:15], v[166:167]
	v_add_f64 v[146:147], v[156:157], v[146:147]
	v_add_f64 v[26:27], v[26:27], v[20:21]
	;; [unrolled: 1-line block ×3, first 2 shown]
	buffer_store_dword v0, off, s[60:63], 0 offset:20 ; 4-byte Folded Spill
	s_nop 0
	buffer_store_dword v1, off, s[60:63], 0 offset:24 ; 4-byte Folded Spill
	buffer_store_dword v2, off, s[60:63], 0 offset:28 ; 4-byte Folded Spill
	;; [unrolled: 1-line block ×3, first 2 shown]
	v_add_f64 v[22:23], v[138:139], v[30:31]
	v_fma_f64 v[138:139], v[226:227], s[34:35], v[158:159]
	v_add_f64 v[30:31], v[144:145], v[28:29]
	v_mul_f64 v[28:29], v[204:205], s[22:23]
	v_mul_f64 v[144:145], v[232:233], s[38:39]
	v_add_f64 v[32:33], v[32:33], v[146:147]
	v_add_f64 v[20:21], v[152:153], v[148:149]
	v_fma_f64 v[148:149], v[84:85], s[18:19], v[34:35]
	v_mul_f64 v[152:153], v[200:201], s[38:39]
	v_fma_f64 v[146:147], v[220:221], s[24:25], v[150:151]
	v_fma_f64 v[150:151], v[224:225], s[18:19], v[168:169]
	v_fma_f64 v[156:157], v[178:179], s[18:19], -v[28:29]
	v_mul_f64 v[158:159], v[160:161], s[44:45]
	v_fma_f64 v[164:165], v[82:83], s[34:35], v[144:145]
	v_add_f64 v[32:33], v[138:139], v[32:33]
	v_add_f64 v[148:149], v[218:219], v[148:149]
	v_fma_f64 v[138:139], v[222:223], s[0:1], v[154:155]
	v_mul_f64 v[154:155], v[202:203], s[44:45]
	v_fma_f64 v[166:167], v[176:177], s[34:35], -v[152:153]
	v_add_f64 v[156:157], v[216:217], v[156:157]
	v_mul_f64 v[168:169], v[130:131], s[40:41]
	v_fma_f64 v[170:171], v[80:81], s[20:21], v[158:159]
	v_add_f64 v[32:33], v[150:151], v[32:33]
	v_add_f64 v[148:149], v[164:165], v[148:149]
	v_mul_f64 v[150:151], v[230:231], s[40:41]
	v_fma_f64 v[34:35], v[84:85], s[18:19], -v[34:35]
	v_fma_f64 v[164:165], v[206:207], s[20:21], -v[154:155]
	v_add_f64 v[156:157], v[166:167], v[156:157]
	v_mul_f64 v[166:167], v[128:129], s[16:17]
	v_fma_f64 v[172:173], v[78:79], s[0:1], v[168:169]
	v_fma_f64 v[144:145], v[82:83], s[34:35], -v[144:145]
	v_add_f64 v[148:149], v[170:171], v[148:149]
	v_mul_f64 v[170:171], v[214:215], s[16:17]
	v_add_f64 v[34:35], v[218:219], v[34:35]
	v_fma_f64 v[174:175], v[228:229], s[0:1], -v[150:151]
	v_add_f64 v[156:157], v[164:165], v[156:157]
	v_mul_f64 v[164:165], v[126:127], s[36:37]
	v_fma_f64 v[180:181], v[76:77], s[14:15], v[166:167]
	v_fma_f64 v[158:159], v[80:81], s[20:21], -v[158:159]
	v_add_f64 v[148:149], v[172:173], v[148:149]
	v_mul_f64 v[172:173], v[136:137], s[36:37]
	v_add_f64 v[34:35], v[144:145], v[34:35]
	;; [unrolled: 8-line block ×4, first 2 shown]
	v_fma_f64 v[168:169], v[222:223], s[24:25], -v[180:181]
	v_add_f64 v[144:145], v[158:159], v[144:145]
	v_add_f64 v[32:33], v[138:139], v[32:33]
	v_fma_f64 v[158:159], v[178:179], s[18:19], v[28:29]
	v_fma_f64 v[138:139], v[70:71], s[6:7], v[156:157]
	v_add_f64 v[148:149], v[236:237], v[148:149]
	v_fma_f64 v[164:165], v[74:75], s[28:29], -v[164:165]
	v_add_f64 v[34:35], v[166:167], v[34:35]
	v_fma_f64 v[166:167], v[220:221], s[6:7], -v[182:183]
	v_add_f64 v[144:145], v[168:169], v[144:145]
	v_add_f64 v[28:29], v[146:147], v[32:33]
	v_fma_f64 v[146:147], v[176:177], s[34:35], v[152:153]
	v_mul_f64 v[152:153], v[234:235], s[16:17]
	v_add_f64 v[158:159], v[216:217], v[158:159]
	v_fma_f64 v[168:169], v[72:73], s[24:25], -v[174:175]
	v_add_f64 v[164:165], v[164:165], v[34:35]
	v_add_f64 v[34:35], v[138:139], v[148:149]
	;; [unrolled: 1-line block ×3, first 2 shown]
	v_fma_f64 v[138:139], v[206:207], s[20:21], v[154:155]
	v_mul_f64 v[144:145], v[232:233], s[30:31]
	v_fma_f64 v[148:149], v[84:85], s[14:15], v[152:153]
	v_add_f64 v[146:147], v[146:147], v[158:159]
	v_fma_f64 v[154:155], v[70:71], s[6:7], -v[156:157]
	v_add_f64 v[156:157], v[168:169], v[164:165]
	v_fma_f64 v[150:151], v[228:229], s[0:1], v[150:151]
	v_mul_f64 v[158:159], v[204:205], s[16:17]
	v_mul_f64 v[164:165], v[160:161], s[50:51]
	v_fma_f64 v[166:167], v[82:83], s[24:25], v[144:145]
	v_add_f64 v[148:149], v[218:219], v[148:149]
	v_add_f64 v[138:139], v[138:139], v[146:147]
	v_fma_f64 v[168:169], v[220:221], s[6:7], v[182:183]
	v_fma_f64 v[146:147], v[226:227], s[14:15], v[170:171]
	v_mul_f64 v[170:171], v[200:201], s[30:31]
	v_fma_f64 v[174:175], v[178:179], s[14:15], -v[158:159]
	v_mul_f64 v[182:183], v[130:131], s[44:45]
	v_fma_f64 v[236:237], v[80:81], s[34:35], v[164:165]
	v_add_f64 v[148:149], v[166:167], v[148:149]
	v_add_f64 v[138:139], v[150:151], v[138:139]
	v_fma_f64 v[150:151], v[224:225], s[28:29], v[172:173]
	v_mul_f64 v[166:167], v[202:203], s[50:51]
	v_fma_f64 v[172:173], v[176:177], s[24:25], -v[170:171]
	v_add_f64 v[174:175], v[216:217], v[174:175]
	v_fma_f64 v[241:242], v[78:79], s[20:21], v[182:183]
	v_fma_f64 v[144:145], v[82:83], s[24:25], -v[144:145]
	v_add_f64 v[148:149], v[236:237], v[148:149]
	v_add_f64 v[138:139], v[146:147], v[138:139]
	v_fma_f64 v[146:147], v[222:223], s[24:25], v[180:181]
	v_mul_f64 v[180:181], v[230:231], s[44:45]
	v_fma_f64 v[236:237], v[206:207], s[34:35], -v[166:167]
	v_add_f64 v[172:173], v[172:173], v[174:175]
	v_mul_f64 v[174:175], v[126:127], s[2:3]
	v_fma_f64 v[164:165], v[80:81], s[34:35], -v[164:165]
	v_add_f64 v[148:149], v[241:242], v[148:149]
	v_add_f64 v[138:139], v[150:151], v[138:139]
	v_fma_f64 v[150:151], v[84:85], s[14:15], -v[152:153]
	v_mul_f64 v[241:242], v[214:215], s[48:49]
	v_fma_f64 v[152:153], v[228:229], s[20:21], -v[180:181]
	v_add_f64 v[172:173], v[236:237], v[172:173]
	v_mul_f64 v[236:237], v[124:125], s[22:23]
	v_fma_f64 v[245:246], v[74:75], s[0:1], v[174:175]
	v_add_f64 v[148:149], v[243:244], v[148:149]
	v_mul_f64 v[243:244], v[136:137], s[2:3]
	v_add_f64 v[150:151], v[218:219], v[150:151]
	v_fma_f64 v[247:248], v[226:227], s[6:7], -v[241:242]
	v_add_f64 v[138:139], v[146:147], v[138:139]
	v_add_f64 v[152:153], v[152:153], v[172:173]
	v_mul_f64 v[172:173], v[122:123], s[36:37]
	v_fma_f64 v[249:250], v[72:73], s[18:19], v[236:237]
	v_add_f64 v[148:149], v[245:246], v[148:149]
	v_fma_f64 v[182:183], v[78:79], s[20:21], -v[182:183]
	v_add_f64 v[144:145], v[144:145], v[150:151]
	v_fma_f64 v[150:151], v[224:225], s[0:1], -v[243:244]
	v_add_f64 v[146:147], v[154:155], v[156:157]
	v_add_f64 v[152:153], v[247:248], v[152:153]
	v_fma_f64 v[247:248], v[70:71], s[28:29], v[172:173]
	v_mul_f64 v[245:246], v[210:211], s[22:23]
	v_add_f64 v[148:149], v[249:250], v[148:149]
	v_fma_f64 v[158:159], v[178:179], s[14:15], v[158:159]
	v_add_f64 v[164:165], v[164:165], v[144:145]
	v_add_f64 v[144:145], v[168:169], v[138:139]
	v_fma_f64 v[138:139], v[76:77], s[6:7], -v[238:239]
	v_add_f64 v[152:153], v[150:151], v[152:153]
	v_fma_f64 v[168:169], v[74:75], s[0:1], -v[174:175]
	v_fma_f64 v[251:252], v[222:223], s[18:19], -v[245:246]
	v_add_f64 v[150:151], v[247:248], v[148:149]
	v_mul_f64 v[148:149], v[234:235], s[12:13]
	v_add_f64 v[154:155], v[182:183], v[164:165]
	v_fma_f64 v[164:165], v[70:71], s[28:29], -v[172:173]
	v_mul_f64 v[172:173], v[232:233], s[22:23]
	v_mul_f64 v[182:183], v[204:205], s[12:13]
	v_fma_f64 v[170:171], v[176:177], s[24:25], v[170:171]
	v_add_f64 v[158:159], v[216:217], v[158:159]
	v_add_f64 v[152:153], v[251:252], v[152:153]
	v_fma_f64 v[174:175], v[84:85], s[6:7], v[148:149]
	v_add_f64 v[138:139], v[138:139], v[154:155]
	v_fma_f64 v[154:155], v[72:73], s[18:19], -v[236:237]
	v_mul_f64 v[236:237], v[160:161], s[30:31]
	v_fma_f64 v[238:239], v[82:83], s[18:19], v[172:173]
	v_fma_f64 v[247:248], v[178:179], s[6:7], -v[182:183]
	v_fma_f64 v[166:167], v[206:207], s[34:35], v[166:167]
	v_add_f64 v[158:159], v[170:171], v[158:159]
	v_add_f64 v[174:175], v[218:219], v[174:175]
	v_add_f64 v[138:139], v[168:169], v[138:139]
	v_mul_f64 v[168:169], v[200:201], s[22:23]
	v_mul_f64 v[170:171], v[130:131], s[38:39]
	v_fma_f64 v[251:252], v[80:81], s[24:25], v[236:237]
	v_add_f64 v[247:248], v[216:217], v[247:248]
	v_mov_b32_e32 v1, v255
	v_mov_b32_e32 v255, v196
	v_add_f64 v[174:175], v[238:239], v[174:175]
	v_mul_f64 v[238:239], v[202:203], s[30:31]
	v_fma_f64 v[253:254], v[176:177], s[18:19], -v[168:169]
	v_mov_b32_e32 v0, v213
	v_mov_b32_e32 v213, v240
	;; [unrolled: 1-line block ×4, first 2 shown]
	v_fma_f64 v[180:181], v[228:229], s[20:21], v[180:181]
	v_add_f64 v[158:159], v[166:167], v[158:159]
	v_mul_f64 v[166:167], v[128:129], s[46:47]
	v_mov_b32_e32 v196, v186
	v_mov_b32_e32 v195, v185
	;; [unrolled: 1-line block ×3, first 2 shown]
	v_fma_f64 v[184:185], v[78:79], s[34:35], v[170:171]
	v_add_f64 v[174:175], v[251:252], v[174:175]
	v_fma_f64 v[186:187], v[226:227], s[6:7], v[241:242]
	v_mul_f64 v[241:242], v[230:231], s[38:39]
	v_fma_f64 v[251:252], v[206:207], s[24:25], -v[238:239]
	v_add_f64 v[247:248], v[253:254], v[247:248]
	v_add_f64 v[158:159], v[180:181], v[158:159]
	v_mul_f64 v[180:181], v[126:127], s[44:45]
	v_fma_f64 v[253:254], v[76:77], s[28:29], v[166:167]
	v_add_f64 v[174:175], v[184:185], v[174:175]
	v_fma_f64 v[184:185], v[224:225], s[0:1], v[243:244]
	v_mul_f64 v[243:244], v[214:215], s[46:47]
	v_mov_b32_e32 v95, v191
	v_fma_f64 v[188:189], v[228:229], s[34:35], -v[241:242]
	v_add_f64 v[190:191], v[251:252], v[247:248]
	buffer_load_dword v2, off, s[60:63], 0 offset:884 ; 4-byte Folded Reload
	buffer_load_dword v3, off, s[60:63], 0 offset:888 ; 4-byte Folded Reload
	v_add_f64 v[158:159], v[186:187], v[158:159]
	v_fma_f64 v[247:248], v[74:75], s[20:21], v[180:181]
	v_add_f64 v[174:175], v[253:254], v[174:175]
	v_mul_f64 v[251:252], v[136:137], s[44:45]
	v_fma_f64 v[253:254], v[226:227], s[28:29], -v[243:244]
	v_mul_f64 v[249:250], v[208:209], s[36:37]
	v_add_f64 v[188:189], v[188:189], v[190:191]
	v_mul_f64 v[186:187], v[124:125], s[42:43]
	v_fma_f64 v[245:246], v[222:223], s[18:19], v[245:246]
	v_add_f64 v[158:159], v[184:185], v[158:159]
	v_add_f64 v[174:175], v[247:248], v[174:175]
	;; [unrolled: 1-line block ×3, first 2 shown]
	v_mul_f64 v[247:248], v[210:211], s[42:43]
	v_fma_f64 v[154:155], v[224:225], s[20:21], -v[251:252]
	v_add_f64 v[188:189], v[253:254], v[188:189]
	v_fma_f64 v[156:157], v[220:221], s[28:29], -v[249:250]
	v_mul_f64 v[184:185], v[122:123], s[40:41]
	v_fma_f64 v[190:191], v[72:73], s[14:15], v[186:187]
	v_fma_f64 v[249:250], v[220:221], s[28:29], v[249:250]
	v_add_f64 v[158:159], v[245:246], v[158:159]
	v_fma_f64 v[253:254], v[84:85], s[6:7], -v[148:149]
	v_fma_f64 v[192:193], v[222:223], s[14:15], -v[247:248]
	v_add_f64 v[188:189], v[154:155], v[188:189]
	v_add_f64 v[148:149], v[156:157], v[152:153]
	v_fma_f64 v[245:246], v[70:71], s[0:1], v[184:185]
	v_add_f64 v[174:175], v[190:191], v[174:175]
	v_fma_f64 v[156:157], v[82:83], s[18:19], -v[172:173]
	v_add_f64 v[152:153], v[249:250], v[158:159]
	v_add_f64 v[158:159], v[218:219], v[253:254]
	v_fma_f64 v[182:183], v[178:179], s[6:7], v[182:183]
	v_add_f64 v[172:173], v[192:193], v[188:189]
	v_mul_f64 v[188:189], v[234:235], s[2:3]
	v_add_f64 v[154:155], v[164:165], v[138:139]
	v_add_f64 v[138:139], v[245:246], v[174:175]
	v_fma_f64 v[174:175], v[70:71], s[0:1], -v[184:185]
	v_fma_f64 v[184:185], v[72:73], s[14:15], -v[186:187]
	;; [unrolled: 1-line block ×3, first 2 shown]
	v_add_f64 v[156:157], v[156:157], v[158:159]
	v_fma_f64 v[158:159], v[74:75], s[20:21], -v[180:181]
	v_fma_f64 v[168:169], v[176:177], s[18:19], v[168:169]
	v_add_f64 v[180:181], v[216:217], v[182:183]
	v_mul_f64 v[182:183], v[232:233], s[12:13]
	v_fma_f64 v[192:193], v[84:85], s[0:1], v[188:189]
	v_add_f64 v[90:91], v[98:99], v[90:91]
	v_fma_f64 v[170:171], v[78:79], s[34:35], -v[170:171]
	v_add_f64 v[156:157], v[186:187], v[156:157]
	v_fma_f64 v[186:187], v[206:207], s[24:25], v[238:239]
	v_add_f64 v[162:163], v[218:219], v[162:163]
	v_add_f64 v[168:169], v[168:169], v[180:181]
	v_mul_f64 v[160:161], v[160:161], s[16:17]
	v_fma_f64 v[180:181], v[82:83], s[6:7], v[182:183]
	v_add_f64 v[192:193], v[218:219], v[192:193]
	v_add_f64 v[88:89], v[90:91], v[88:89]
	;; [unrolled: 1-line block ×3, first 2 shown]
	v_fma_f64 v[170:171], v[228:229], s[34:35], v[241:242]
	v_add_f64 v[120:121], v[162:163], v[120:121]
	v_add_f64 v[100:101], v[186:187], v[168:169]
	v_mul_f64 v[130:131], v[130:131], s[22:23]
	v_fma_f64 v[162:163], v[80:81], s[14:15], v[160:161]
	v_add_f64 v[168:169], v[180:181], v[192:193]
	v_add_f64 v[88:89], v[88:89], v[62:63]
	v_mul_f64 v[190:191], v[208:209], s[40:41]
	v_fma_f64 v[84:85], v[84:85], s[0:1], -v[188:189]
	v_add_f64 v[118:119], v[120:121], v[118:119]
	v_add_f64 v[98:99], v[170:171], v[100:101]
	v_mul_f64 v[100:101], v[128:129], s[26:27]
	v_fma_f64 v[120:121], v[78:79], s[18:19], v[130:131]
	v_add_f64 v[128:129], v[162:163], v[168:169]
	v_add_f64 v[56:57], v[88:89], v[56:57]
	v_fma_f64 v[164:165], v[220:221], s[0:1], -v[190:191]
	v_fma_f64 v[166:167], v[76:77], s[28:29], -v[166:167]
	v_add_f64 v[116:117], v[118:119], v[116:117]
	v_fma_f64 v[82:83], v[82:83], s[6:7], -v[182:183]
	v_fma_f64 v[118:119], v[76:77], s[20:21], v[100:101]
	v_add_f64 v[84:85], v[218:219], v[84:85]
	v_add_f64 v[120:121], v[120:121], v[128:129]
	;; [unrolled: 1-line block ×3, first 2 shown]
	v_mul_f64 v[56:57], v[204:205], s[2:3]
	v_add_f64 v[156:157], v[166:167], v[156:157]
	v_fma_f64 v[166:167], v[226:227], s[28:29], v[243:244]
	v_add_f64 v[114:115], v[116:117], v[114:115]
	v_fma_f64 v[128:129], v[222:223], s[14:15], v[247:248]
	v_fma_f64 v[80:81], v[80:81], s[14:15], -v[160:161]
	v_add_f64 v[118:119], v[118:119], v[120:121]
	v_fma_f64 v[120:121], v[220:221], s[0:1], v[190:191]
	v_mov_b32_e32 v191, v95
	v_mov_b32_e32 v190, v94
	;; [unrolled: 1-line block ×8, first 2 shown]
	s_waitcnt vmcnt(0)
	v_add_f64 v[42:43], v[46:47], v[2:3]
	buffer_load_dword v2, off, s[60:63], 0 offset:876 ; 4-byte Folded Reload
	buffer_load_dword v3, off, s[60:63], 0 offset:880 ; 4-byte Folded Reload
	v_add_f64 v[156:157], v[158:159], v[156:157]
	v_add_f64 v[90:91], v[166:167], v[98:99]
	v_mul_f64 v[98:99], v[126:127], s[30:31]
	v_add_f64 v[112:113], v[114:115], v[112:113]
	v_fma_f64 v[158:159], v[224:225], s[20:21], v[251:252]
	v_fma_f64 v[46:47], v[178:179], s[0:1], v[56:57]
	v_fma_f64 v[56:57], v[178:179], s[0:1], -v[56:57]
	v_add_f64 v[82:83], v[82:83], v[84:85]
	v_add_f64 v[126:127], v[184:185], v[156:157]
	v_mov_b32_e32 v184, v194
	v_mov_b32_e32 v185, v195
	;; [unrolled: 1-line block ×12, first 2 shown]
	v_add_f64 v[106:107], v[112:113], v[106:107]
	v_mul_f64 v[112:113], v[136:137], s[30:31]
	v_mul_f64 v[136:137], v[200:201], s[12:13]
	v_add_f64 v[90:91], v[158:159], v[90:91]
	v_add_f64 v[56:57], v[216:217], v[56:57]
	;; [unrolled: 1-line block ×3, first 2 shown]
	v_mul_f64 v[126:127], v[214:215], s[26:27]
	v_mul_f64 v[116:117], v[124:125], s[36:37]
	v_add_f64 v[104:105], v[106:107], v[104:105]
	v_mul_f64 v[106:107], v[202:203], s[16:17]
	v_fma_f64 v[156:157], v[176:177], s[6:7], v[136:137]
	v_add_f64 v[88:89], v[128:129], v[90:91]
	v_mul_f64 v[128:129], v[230:231], s[22:23]
	v_fma_f64 v[124:125], v[74:75], s[24:25], v[98:99]
	v_mul_f64 v[90:91], v[122:123], s[38:39]
	v_mul_f64 v[122:123], v[208:209], s[38:39]
	v_add_f64 v[102:103], v[104:105], v[102:103]
	v_fma_f64 v[84:85], v[206:207], s[14:15], v[106:107]
	v_mov_b32_e32 v197, v240
	v_mov_b32_e32 v240, v213
	v_fma_f64 v[40:41], v[228:229], s[18:19], -v[128:129]
	v_add_f64 v[118:119], v[124:125], v[118:119]
	v_mul_f64 v[124:125], v[210:211], s[36:37]
	v_mov_b32_e32 v213, v0
	v_add_f64 v[96:97], v[102:103], v[96:97]
	v_fma_f64 v[114:115], v[72:73], s[28:29], v[116:117]
	s_waitcnt vmcnt(0)
	v_add_f64 v[38:39], v[42:43], v[2:3]
	buffer_load_dword v2, off, s[60:63], 0 offset:868 ; 4-byte Folded Reload
	buffer_load_dword v3, off, s[60:63], 0 offset:872 ; 4-byte Folded Reload
	v_add_f64 v[42:43], v[216:217], v[46:47]
	v_fma_f64 v[46:47], v[176:177], s[6:7], -v[136:137]
	v_add_f64 v[136:137], v[164:165], v[172:173]
	v_add_f64 v[46:47], v[46:47], v[56:57]
	v_fma_f64 v[56:57], v[78:79], s[18:19], -v[130:131]
	v_add_f64 v[78:79], v[80:81], v[82:83]
	v_fma_f64 v[80:81], v[228:229], s[18:19], v[128:129]
	v_add_f64 v[82:83], v[96:97], v[86:87]
	v_add_f64 v[56:57], v[56:57], v[78:79]
	;; [unrolled: 1-line block ×5, first 2 shown]
	v_fma_f64 v[66:67], v[220:221], s[34:35], -v[122:123]
	v_add_f64 v[58:59], v[64:65], v[58:59]
	v_add_f64 v[64:65], v[114:115], v[118:119]
	s_waitcnt vmcnt(0)
	v_add_f64 v[36:37], v[38:39], v[2:3]
	v_add_f64 v[38:39], v[156:157], v[42:43]
	v_fma_f64 v[42:43], v[206:207], s[14:15], -v[106:107]
	v_add_f64 v[36:37], v[36:37], v[198:199]
	v_add_f64 v[38:39], v[84:85], v[38:39]
	;; [unrolled: 1-line block ×3, first 2 shown]
	v_fma_f64 v[46:47], v[76:77], s[20:21], -v[100:101]
	v_fma_f64 v[76:77], v[226:227], s[20:21], v[126:127]
	v_add_u32_e32 v199, 0x440, v212
	v_add_u32_e32 v198, 0x550, v212
	v_add_f64 v[36:37], v[36:37], v[44:45]
	v_add_f64 v[38:39], v[80:81], v[38:39]
	v_fma_f64 v[44:45], v[226:227], s[20:21], -v[126:127]
	v_add_f64 v[40:41], v[40:41], v[42:43]
	v_add_f64 v[46:47], v[46:47], v[56:57]
	v_fma_f64 v[56:57], v[224:225], s[24:25], v[112:113]
	v_fma_f64 v[42:43], v[74:75], s[24:25], -v[98:99]
	v_add_f64 v[36:37], v[36:37], v[54:55]
	v_add_f64 v[38:39], v[76:77], v[38:39]
	v_fma_f64 v[54:55], v[224:225], s[24:25], -v[112:113]
	v_add_f64 v[40:41], v[44:45], v[40:41]
	v_fma_f64 v[44:45], v[72:73], s[28:29], -v[116:117]
	v_add_f64 v[42:43], v[42:43], v[46:47]
	v_fma_f64 v[46:47], v[222:223], s[28:29], v[124:125]
	v_add_f64 v[36:37], v[36:37], v[60:61]
	v_add_f64 v[38:39], v[56:57], v[38:39]
	v_fma_f64 v[56:57], v[222:223], s[28:29], -v[124:125]
	v_add_f64 v[40:41], v[54:55], v[40:41]
	v_fma_f64 v[54:55], v[70:71], s[34:35], -v[90:91]
	v_add_f64 v[60:61], v[120:121], v[88:89]
	v_add_f64 v[42:43], v[44:45], v[42:43]
	v_fma_f64 v[44:45], v[220:221], s[34:35], v[122:123]
	v_add_f64 v[36:37], v[36:37], v[52:53]
	v_add_f64 v[46:47], v[46:47], v[38:39]
	v_fma_f64 v[52:53], v[70:71], s[34:35], v[90:91]
	v_add_f64 v[56:57], v[56:57], v[40:41]
	v_add_f64 v[38:39], v[54:55], v[42:43]
	;; [unrolled: 1-line block ×4, first 2 shown]
	buffer_load_dword v48, off, s[60:63], 0 offset:864 ; 4-byte Folded Reload
	v_add_f64 v[36:37], v[44:45], v[46:47]
	v_add_f64 v[46:47], v[52:53], v[64:65]
	;; [unrolled: 1-line block ×3, first 2 shown]
	s_waitcnt vmcnt(0)
	v_and_b32_e32 v48, 0xff, v48
	v_lshl_add_u32 v48, v48, 4, v255
	ds_write_b128 v48, v[40:43] offset:7616
	ds_write_b128 v48, v[36:39] offset:7728
	;; [unrolled: 1-line block ×9, first 2 shown]
	v_mov_b32_e32 v255, v1
	buffer_load_dword v0, off, s[60:63], 0 offset:20 ; 4-byte Folded Reload
	buffer_load_dword v1, off, s[60:63], 0 offset:24 ; 4-byte Folded Reload
	;; [unrolled: 1-line block ×4, first 2 shown]
	s_waitcnt vmcnt(0)
	ds_write_b128 v48, v[0:3] offset:8624
	ds_write_b128 v48, v[4:7] offset:8736
	;; [unrolled: 1-line block ×8, first 2 shown]
.LBB0_9:
	s_or_b64 exec, exec, s[56:57]
	s_waitcnt lgkmcnt(0)
	; wave barrier
	s_waitcnt lgkmcnt(0)
	ds_read_b128 v[0:3], v212 offset:1904
	buffer_load_dword v6, off, s[60:63], 0 offset:276 ; 4-byte Folded Reload
	buffer_load_dword v7, off, s[60:63], 0 offset:280 ; 4-byte Folded Reload
	;; [unrolled: 1-line block ×4, first 2 shown]
	s_mov_b32 s2, 0x134454ff
	s_mov_b32 s3, 0xbfee6f0e
	s_mov_b32 s15, 0x3fee6f0e
	s_mov_b32 s14, s2
	s_mov_b32 s0, 0x4755a5e
	s_mov_b32 s1, 0xbfe2cf23
	s_mov_b32 s7, 0x3fe2cf23
	s_mov_b32 s6, s0
	s_mov_b32 s12, 0x372fe950
	s_mov_b32 s13, 0x3fd3c6ef
	s_waitcnt vmcnt(0) lgkmcnt(0)
	v_mul_f64 v[4:5], v[8:9], v[2:3]
	v_fma_f64 v[12:13], v[6:7], v[0:1], v[4:5]
	v_mul_f64 v[0:1], v[8:9], v[0:1]
	v_fma_f64 v[16:17], v[6:7], v[2:3], -v[0:1]
	ds_read_b128 v[0:3], v212 offset:3808
	s_waitcnt lgkmcnt(0)
	v_mul_f64 v[4:5], v[194:195], v[2:3]
	v_fma_f64 v[14:15], v[192:193], v[0:1], v[4:5]
	v_mul_f64 v[0:1], v[194:195], v[0:1]
	v_add_f64 v[136:137], v[14:15], -v[12:13]
	v_fma_f64 v[18:19], v[192:193], v[2:3], -v[0:1]
	ds_read_b128 v[0:3], v212 offset:5712
	s_waitcnt lgkmcnt(0)
	v_mul_f64 v[4:5], v[190:191], v[2:3]
	v_fma_f64 v[104:105], v[188:189], v[0:1], v[4:5]
	v_mul_f64 v[0:1], v[190:191], v[0:1]
	v_fma_f64 v[106:107], v[188:189], v[2:3], -v[0:1]
	ds_read_b128 v[0:3], v212 offset:7616
	s_waitcnt lgkmcnt(0)
	v_mul_f64 v[4:5], v[186:187], v[2:3]
	v_fma_f64 v[112:113], v[184:185], v[0:1], v[4:5]
	v_mul_f64 v[0:1], v[186:187], v[0:1]
	v_fma_f64 v[114:115], v[184:185], v[2:3], -v[0:1]
	ds_read_b128 v[0:3], v212 offset:2176
	buffer_load_dword v6, off, s[60:63], 0 offset:1464 ; 4-byte Folded Reload
	buffer_load_dword v7, off, s[60:63], 0 offset:1468 ; 4-byte Folded Reload
	buffer_load_dword v8, off, s[60:63], 0 offset:1472 ; 4-byte Folded Reload
	buffer_load_dword v9, off, s[60:63], 0 offset:1476 ; 4-byte Folded Reload
	s_waitcnt vmcnt(0) lgkmcnt(0)
	v_mul_f64 v[4:5], v[8:9], v[2:3]
	v_fma_f64 v[116:117], v[6:7], v[0:1], v[4:5]
	v_mul_f64 v[0:1], v[8:9], v[0:1]
	v_fma_f64 v[118:119], v[6:7], v[2:3], -v[0:1]
	ds_read_b128 v[0:3], v212 offset:4080
	buffer_load_dword v6, off, s[60:63], 0 offset:1448 ; 4-byte Folded Reload
	buffer_load_dword v7, off, s[60:63], 0 offset:1452 ; 4-byte Folded Reload
	buffer_load_dword v8, off, s[60:63], 0 offset:1456 ; 4-byte Folded Reload
	buffer_load_dword v9, off, s[60:63], 0 offset:1460 ; 4-byte Folded Reload
	s_waitcnt vmcnt(0) lgkmcnt(0)
	;; [unrolled: 10-line block ×7, first 2 shown]
	v_mul_f64 v[4:5], v[8:9], v[2:3]
	v_fma_f64 v[96:97], v[6:7], v[0:1], v[4:5]
	v_mul_f64 v[0:1], v[8:9], v[0:1]
	v_fma_f64 v[90:91], v[6:7], v[2:3], -v[0:1]
	ds_read_b128 v[0:3], v212 offset:8160
	s_waitcnt lgkmcnt(0)
	v_mul_f64 v[4:5], v[110:111], v[2:3]
	v_fma_f64 v[102:103], v[108:109], v[0:1], v[4:5]
	v_mul_f64 v[0:1], v[110:111], v[0:1]
	v_fma_f64 v[100:101], v[108:109], v[2:3], -v[0:1]
	ds_read_b128 v[0:3], v212 offset:2720
	buffer_load_dword v6, off, s[60:63], 0 offset:1544 ; 4-byte Folded Reload
	buffer_load_dword v7, off, s[60:63], 0 offset:1548 ; 4-byte Folded Reload
	;; [unrolled: 1-line block ×4, first 2 shown]
	v_add_f64 v[108:109], v[18:19], -v[106:107]
	s_waitcnt vmcnt(0) lgkmcnt(0)
	v_mul_f64 v[4:5], v[8:9], v[2:3]
	v_fma_f64 v[72:73], v[6:7], v[0:1], v[4:5]
	v_mul_f64 v[0:1], v[8:9], v[0:1]
	v_fma_f64 v[68:69], v[6:7], v[2:3], -v[0:1]
	ds_read_b128 v[0:3], v212 offset:4624
	buffer_load_dword v6, off, s[60:63], 0 offset:1528 ; 4-byte Folded Reload
	buffer_load_dword v7, off, s[60:63], 0 offset:1532 ; 4-byte Folded Reload
	;; [unrolled: 1-line block ×4, first 2 shown]
	s_waitcnt vmcnt(0) lgkmcnt(0)
	v_mul_f64 v[4:5], v[8:9], v[2:3]
	v_fma_f64 v[76:77], v[6:7], v[0:1], v[4:5]
	v_mul_f64 v[0:1], v[8:9], v[0:1]
	v_fma_f64 v[70:71], v[6:7], v[2:3], -v[0:1]
	ds_read_b128 v[0:3], v212 offset:6528
	buffer_load_dword v6, off, s[60:63], 0 offset:1512 ; 4-byte Folded Reload
	buffer_load_dword v7, off, s[60:63], 0 offset:1516 ; 4-byte Folded Reload
	;; [unrolled: 1-line block ×4, first 2 shown]
	s_waitcnt vmcnt(0) lgkmcnt(0)
	v_mul_f64 v[4:5], v[8:9], v[2:3]
	v_fma_f64 v[78:79], v[6:7], v[0:1], v[4:5]
	v_mul_f64 v[0:1], v[8:9], v[0:1]
	v_fma_f64 v[74:75], v[6:7], v[2:3], -v[0:1]
	ds_read_b128 v[0:3], v212 offset:8432
	s_waitcnt lgkmcnt(0)
	v_mul_f64 v[4:5], v[94:95], v[2:3]
	v_fma_f64 v[82:83], v[92:93], v[0:1], v[4:5]
	v_mul_f64 v[0:1], v[94:95], v[0:1]
	v_add_f64 v[94:95], v[16:17], -v[114:115]
	v_fma_f64 v[80:81], v[92:93], v[2:3], -v[0:1]
	ds_read_b128 v[0:3], v212 offset:2992
	buffer_load_dword v6, off, s[60:63], 0 offset:1608 ; 4-byte Folded Reload
	buffer_load_dword v7, off, s[60:63], 0 offset:1612 ; 4-byte Folded Reload
	buffer_load_dword v8, off, s[60:63], 0 offset:1616 ; 4-byte Folded Reload
	buffer_load_dword v9, off, s[60:63], 0 offset:1620 ; 4-byte Folded Reload
	s_waitcnt vmcnt(0) lgkmcnt(0)
	v_mul_f64 v[4:5], v[8:9], v[2:3]
	v_fma_f64 v[56:57], v[6:7], v[0:1], v[4:5]
	v_mul_f64 v[0:1], v[8:9], v[0:1]
	v_fma_f64 v[52:53], v[6:7], v[2:3], -v[0:1]
	ds_read_b128 v[0:3], v212 offset:4896
	buffer_load_dword v6, off, s[60:63], 0 offset:1592 ; 4-byte Folded Reload
	buffer_load_dword v7, off, s[60:63], 0 offset:1596 ; 4-byte Folded Reload
	buffer_load_dword v8, off, s[60:63], 0 offset:1600 ; 4-byte Folded Reload
	buffer_load_dword v9, off, s[60:63], 0 offset:1604 ; 4-byte Folded Reload
	s_waitcnt vmcnt(0) lgkmcnt(0)
	v_mul_f64 v[4:5], v[8:9], v[2:3]
	v_fma_f64 v[62:63], v[6:7], v[0:1], v[4:5]
	v_mul_f64 v[0:1], v[8:9], v[0:1]
	;; [unrolled: 10-line block ×8, first 2 shown]
	v_fma_f64 v[48:49], v[6:7], v[2:3], -v[0:1]
	ds_read_b128 v[0:3], v212 offset:3536
	s_waitcnt lgkmcnt(0)
	v_mul_f64 v[4:5], v[142:143], v[2:3]
	v_fma_f64 v[24:25], v[140:141], v[0:1], v[4:5]
	v_mul_f64 v[0:1], v[142:143], v[0:1]
	v_fma_f64 v[20:21], v[140:141], v[2:3], -v[0:1]
	ds_read_b128 v[0:3], v212 offset:5440
	s_waitcnt lgkmcnt(0)
	v_mul_f64 v[4:5], v[134:135], v[2:3]
	v_fma_f64 v[30:31], v[132:133], v[0:1], v[4:5]
	v_mul_f64 v[0:1], v[134:135], v[0:1]
	v_add_f64 v[134:135], v[14:15], -v[104:105]
	v_fma_f64 v[22:23], v[132:133], v[2:3], -v[0:1]
	ds_read_b128 v[0:3], v212 offset:7344
	buffer_load_dword v6, off, s[60:63], 0 offset:1704 ; 4-byte Folded Reload
	buffer_load_dword v7, off, s[60:63], 0 offset:1708 ; 4-byte Folded Reload
	buffer_load_dword v8, off, s[60:63], 0 offset:1712 ; 4-byte Folded Reload
	buffer_load_dword v9, off, s[60:63], 0 offset:1716 ; 4-byte Folded Reload
	v_add_f64 v[132:133], v[12:13], -v[112:113]
	s_waitcnt vmcnt(0) lgkmcnt(0)
	v_mul_f64 v[4:5], v[8:9], v[2:3]
	v_fma_f64 v[28:29], v[6:7], v[0:1], v[4:5]
	v_mul_f64 v[0:1], v[8:9], v[0:1]
	v_fma_f64 v[26:27], v[6:7], v[2:3], -v[0:1]
	ds_read_b128 v[0:3], v212 offset:9248
	buffer_load_dword v6, off, s[60:63], 0 offset:1688 ; 4-byte Folded Reload
	buffer_load_dword v7, off, s[60:63], 0 offset:1692 ; 4-byte Folded Reload
	;; [unrolled: 1-line block ×4, first 2 shown]
	s_waitcnt vmcnt(0) lgkmcnt(0)
	v_mul_f64 v[4:5], v[8:9], v[2:3]
	v_fma_f64 v[34:35], v[6:7], v[0:1], v[4:5]
	v_mul_f64 v[0:1], v[8:9], v[0:1]
	v_add_f64 v[4:5], v[114:115], -v[106:107]
	ds_read_b128 v[8:11], v212
	v_fma_f64 v[32:33], v[6:7], v[2:3], -v[0:1]
	v_add_f64 v[0:1], v[12:13], -v[14:15]
	v_add_f64 v[2:3], v[112:113], -v[104:105]
	v_add_f64 v[6:7], v[18:19], v[106:107]
	v_add_f64 v[0:1], v[0:1], v[2:3]
	v_add_f64 v[2:3], v[16:17], -v[18:19]
	s_waitcnt lgkmcnt(0)
	v_fma_f64 v[110:111], v[6:7], -0.5, v[10:11]
	v_add_f64 v[2:3], v[2:3], v[4:5]
	v_add_f64 v[4:5], v[14:15], v[104:105]
	v_fma_f64 v[6:7], v[132:133], s[14:15], v[110:111]
	v_fma_f64 v[110:111], v[132:133], s[2:3], v[110:111]
	v_fma_f64 v[92:93], v[4:5], -0.5, v[8:9]
	v_fma_f64 v[6:7], v[134:135], s[6:7], v[6:7]
	v_fma_f64 v[110:111], v[134:135], s[0:1], v[110:111]
	;; [unrolled: 1-line block ×6, first 2 shown]
	v_add_f64 v[110:111], v[16:17], v[114:115]
	v_fma_f64 v[4:5], v[108:109], s[0:1], v[4:5]
	v_fma_f64 v[92:93], v[108:109], s[6:7], v[92:93]
	v_fma_f64 v[110:111], v[110:111], -0.5, v[10:11]
	v_add_f64 v[10:11], v[10:11], v[16:17]
	v_fma_f64 v[4:5], v[0:1], s[12:13], v[4:5]
	v_fma_f64 v[0:1], v[0:1], s[12:13], v[92:93]
	v_add_f64 v[92:93], v[12:13], v[112:113]
	v_add_f64 v[10:11], v[10:11], v[18:19]
	v_fma_f64 v[92:93], v[92:93], -0.5, v[8:9]
	v_add_f64 v[8:9], v[8:9], v[12:13]
	v_add_f64 v[10:11], v[10:11], v[106:107]
	v_fma_f64 v[138:139], v[108:109], s[14:15], v[92:93]
	v_add_f64 v[8:9], v[8:9], v[14:15]
	v_fma_f64 v[92:93], v[108:109], s[2:3], v[92:93]
	v_add_f64 v[14:15], v[10:11], v[114:115]
	v_add_f64 v[10:11], v[106:107], -v[114:115]
	v_add_f64 v[114:115], v[118:119], -v[130:131]
	v_fma_f64 v[106:107], v[94:95], s[0:1], v[138:139]
	v_add_f64 v[8:9], v[8:9], v[104:105]
	v_add_f64 v[104:105], v[104:105], -v[112:113]
	v_fma_f64 v[92:93], v[94:95], s[6:7], v[92:93]
	v_add_f64 v[138:139], v[120:121], -v[124:125]
	v_add_f64 v[12:13], v[8:9], v[112:113]
	v_add_f64 v[8:9], v[18:19], -v[16:17]
	v_fma_f64 v[16:17], v[134:135], s[2:3], v[110:111]
	v_fma_f64 v[18:19], v[134:135], s[14:15], v[110:111]
	v_add_f64 v[104:105], v[136:137], v[104:105]
	v_add_f64 v[136:137], v[116:117], -v[128:129]
	ds_write_b128 v212, v[12:15]
	v_add_f64 v[10:11], v[8:9], v[10:11]
	v_fma_f64 v[8:9], v[132:133], s[6:7], v[16:17]
	v_fma_f64 v[94:95], v[132:133], s[0:1], v[18:19]
	;; [unrolled: 1-line block ×3, first 2 shown]
	v_add_f64 v[106:107], v[122:123], v[126:127]
	v_add_f64 v[132:133], v[122:123], -v[126:127]
	v_fma_f64 v[18:19], v[10:11], s[12:13], v[8:9]
	v_fma_f64 v[8:9], v[104:105], s[12:13], v[92:93]
	;; [unrolled: 1-line block ×3, first 2 shown]
	v_add_f64 v[92:93], v[116:117], -v[120:121]
	v_add_f64 v[94:95], v[128:129], -v[124:125]
	v_add_f64 v[104:105], v[120:121], v[124:125]
	v_add_f64 v[108:109], v[92:93], v[94:95]
	v_add_f64 v[92:93], v[118:119], -v[122:123]
	v_add_f64 v[94:95], v[130:131], -v[126:127]
	v_add_f64 v[110:111], v[92:93], v[94:95]
	ds_read_b128 v[92:95], v212 offset:272
	s_waitcnt lgkmcnt(0)
	v_fma_f64 v[112:113], v[104:105], -0.5, v[92:93]
	v_fma_f64 v[134:135], v[106:107], -0.5, v[94:95]
	v_fma_f64 v[104:105], v[114:115], s[2:3], v[112:113]
	v_fma_f64 v[112:113], v[114:115], s[14:15], v[112:113]
	;; [unrolled: 1-line block ×10, first 2 shown]
	v_add_f64 v[112:113], v[116:117], v[128:129]
	v_fma_f64 v[106:107], v[110:111], s[12:13], v[106:107]
	v_fma_f64 v[110:111], v[110:111], s[12:13], v[134:135]
	v_add_f64 v[134:135], v[118:119], v[130:131]
	v_fma_f64 v[112:113], v[112:113], -0.5, v[92:93]
	v_add_f64 v[92:93], v[92:93], v[116:117]
	v_add_f64 v[116:117], v[120:121], -v[116:117]
	v_fma_f64 v[134:135], v[134:135], -0.5, v[94:95]
	v_add_f64 v[94:95], v[94:95], v[118:119]
	v_add_f64 v[118:119], v[122:123], -v[118:119]
	v_add_f64 v[92:93], v[92:93], v[120:121]
	v_fma_f64 v[120:121], v[132:133], s[14:15], v[112:113]
	v_fma_f64 v[112:113], v[132:133], s[2:3], v[112:113]
	v_add_f64 v[94:95], v[94:95], v[122:123]
	v_add_f64 v[122:123], v[126:127], -v[130:131]
	v_add_f64 v[92:93], v[92:93], v[124:125]
	v_add_f64 v[124:125], v[124:125], -v[128:129]
	v_fma_f64 v[120:121], v[114:115], s[0:1], v[120:121]
	v_add_f64 v[94:95], v[94:95], v[126:127]
	v_fma_f64 v[126:127], v[138:139], s[2:3], v[134:135]
	v_add_f64 v[118:119], v[118:119], v[122:123]
	v_add_f64 v[92:93], v[92:93], v[128:129]
	v_fma_f64 v[128:129], v[138:139], s[14:15], v[134:135]
	v_add_f64 v[116:117], v[116:117], v[124:125]
	v_fma_f64 v[124:125], v[114:115], s[6:7], v[112:113]
	v_fma_f64 v[114:115], v[136:137], s[6:7], v[126:127]
	v_add_f64 v[94:95], v[94:95], v[130:131]
	v_fma_f64 v[122:123], v[136:137], s[0:1], v[128:129]
	v_fma_f64 v[112:113], v[116:117], s[12:13], v[120:121]
	;; [unrolled: 1-line block ×5, first 2 shown]
	ds_read_b128 v[12:15], v212 offset:1632
	ds_read_b128 v[120:123], v212 offset:544
	;; [unrolled: 1-line block ×5, first 2 shown]
	ds_write_b128 v213, v[4:7] offset:1904
	ds_write_b128 v213, v[16:19] offset:3808
	ds_write_b128 v213, v[8:11] offset:5712
	ds_write_b128 v213, v[0:3] offset:7616
	ds_write_b128 v212, v[92:95] offset:272
	ds_write_b128 v213, v[104:107] offset:2176
	ds_write_b128 v213, v[112:115] offset:4080
	ds_write_b128 v213, v[116:119] offset:5984
	ds_write_b128 v213, v[108:111] offset:7888
	v_add_f64 v[0:1], v[88:89], -v[98:99]
	v_add_f64 v[2:3], v[102:103], -v[96:97]
	;; [unrolled: 1-line block ×6, first 2 shown]
	s_waitcnt lgkmcnt(12)
	v_add_f64 v[104:105], v[120:121], v[88:89]
	v_add_f64 v[106:107], v[122:123], v[84:85]
	s_waitcnt lgkmcnt(11)
	v_add_f64 v[110:111], v[126:127], v[68:69]
	v_add_f64 v[4:5], v[0:1], v[2:3]
	v_add_f64 v[0:1], v[84:85], -v[86:87]
	v_add_f64 v[2:3], v[100:101], -v[90:91]
	s_waitcnt lgkmcnt(10)
	v_add_f64 v[114:115], v[130:131], v[52:53]
	s_waitcnt lgkmcnt(9)
	v_add_f64 v[118:119], v[134:135], v[36:37]
	v_add_f64 v[104:105], v[104:105], v[98:99]
	;; [unrolled: 1-line block ×5, first 2 shown]
	v_fma_f64 v[8:9], v[0:1], -0.5, v[120:121]
	v_fma_f64 v[18:19], v[2:3], -0.5, v[122:123]
	v_fma_f64 v[0:1], v[16:17], s[2:3], v[8:9]
	v_fma_f64 v[8:9], v[16:17], s[14:15], v[8:9]
	v_fma_f64 v[2:3], v[92:93], s[14:15], v[18:19]
	v_fma_f64 v[18:19], v[92:93], s[2:3], v[18:19]
	v_fma_f64 v[0:1], v[10:11], s[0:1], v[0:1]
	v_fma_f64 v[8:9], v[10:11], s[6:7], v[8:9]
	v_fma_f64 v[2:3], v[94:95], s[6:7], v[2:3]
	v_fma_f64 v[18:19], v[94:95], s[0:1], v[18:19]
	v_fma_f64 v[0:1], v[4:5], s[12:13], v[0:1]
	v_fma_f64 v[4:5], v[4:5], s[12:13], v[8:9]
	v_add_f64 v[8:9], v[88:89], v[102:103]
	v_fma_f64 v[2:3], v[6:7], s[12:13], v[2:3]
	v_fma_f64 v[6:7], v[6:7], s[12:13], v[18:19]
	v_add_f64 v[18:19], v[84:85], v[100:101]
	v_add_f64 v[88:89], v[98:99], -v[88:89]
	v_add_f64 v[84:85], v[86:87], -v[84:85]
	v_fma_f64 v[8:9], v[8:9], -0.5, v[120:121]
	v_fma_f64 v[18:19], v[18:19], -0.5, v[122:123]
	v_fma_f64 v[98:99], v[10:11], s[14:15], v[8:9]
	v_fma_f64 v[108:109], v[10:11], s[2:3], v[8:9]
	v_add_f64 v[8:9], v[106:107], v[86:87]
	v_add_f64 v[10:11], v[104:105], v[96:97]
	v_add_f64 v[96:97], v[96:97], -v[102:103]
	v_add_f64 v[86:87], v[90:91], -v[100:101]
	v_add_f64 v[106:107], v[76:77], -v[78:79]
	v_add_f64 v[104:105], v[8:9], v[90:91]
	v_fma_f64 v[90:91], v[94:95], s[2:3], v[18:19]
	v_fma_f64 v[18:19], v[94:95], s[14:15], v[18:19]
	v_add_f64 v[88:89], v[88:89], v[96:97]
	v_fma_f64 v[94:95], v[16:17], s[0:1], v[98:99]
	v_fma_f64 v[96:97], v[16:17], s[6:7], v[108:109]
	v_add_f64 v[86:87], v[84:85], v[86:87]
	v_add_f64 v[98:99], v[68:69], -v[80:81]
	v_add_f64 v[8:9], v[10:11], v[102:103]
	v_fma_f64 v[84:85], v[92:93], s[6:7], v[90:91]
	v_fma_f64 v[90:91], v[92:93], s[0:1], v[18:19]
	v_add_f64 v[10:11], v[104:105], v[100:101]
	v_fma_f64 v[16:17], v[88:89], s[12:13], v[94:95]
	v_add_f64 v[100:101], v[70:71], -v[74:75]
	v_add_f64 v[104:105], v[72:73], -v[82:83]
	v_add_f64 v[108:109], v[124:125], v[72:73]
	ds_write_b128 v212, v[8:11] offset:544
	ds_write_b128 v255, v[0:3] offset:1904
	v_fma_f64 v[18:19], v[86:87], s[12:13], v[84:85]
	v_fma_f64 v[84:85], v[88:89], s[12:13], v[96:97]
	;; [unrolled: 1-line block ×3, first 2 shown]
	v_add_f64 v[88:89], v[72:73], -v[76:77]
	v_add_f64 v[90:91], v[82:83], -v[78:79]
	v_add_f64 v[108:109], v[108:109], v[76:77]
	buffer_load_dword v0, off, s[60:63], 0 offset:372 ; 4-byte Folded Reload
	buffer_load_dword v1, off, s[60:63], 0 offset:376 ; 4-byte Folded Reload
	v_add_f64 v[92:93], v[88:89], v[90:91]
	v_add_f64 v[88:89], v[68:69], -v[70:71]
	v_add_f64 v[90:91], v[80:81], -v[74:75]
	v_add_f64 v[94:95], v[88:89], v[90:91]
	v_add_f64 v[88:89], v[76:77], v[78:79]
	;; [unrolled: 1-line block ×3, first 2 shown]
	v_fma_f64 v[96:97], v[88:89], -0.5, v[124:125]
	v_fma_f64 v[102:103], v[90:91], -0.5, v[126:127]
	v_fma_f64 v[88:89], v[98:99], s[2:3], v[96:97]
	v_fma_f64 v[96:97], v[98:99], s[14:15], v[96:97]
	;; [unrolled: 1-line block ×10, first 2 shown]
	v_add_f64 v[96:97], v[72:73], v[82:83]
	v_fma_f64 v[90:91], v[94:95], s[12:13], v[90:91]
	v_fma_f64 v[94:95], v[94:95], s[12:13], v[102:103]
	v_add_f64 v[102:103], v[68:69], v[80:81]
	v_add_f64 v[72:73], v[76:77], -v[72:73]
	v_add_f64 v[76:77], v[110:111], v[70:71]
	v_add_f64 v[110:111], v[78:79], -v[82:83]
	v_add_f64 v[68:69], v[70:71], -v[68:69]
	v_fma_f64 v[96:97], v[96:97], -0.5, v[124:125]
	v_add_f64 v[70:71], v[74:75], -v[80:81]
	v_fma_f64 v[102:103], v[102:103], -0.5, v[126:127]
	v_add_f64 v[72:73], v[72:73], v[110:111]
	v_add_f64 v[110:111], v[62:63], -v[60:61]
	v_fma_f64 v[112:113], v[100:101], s[14:15], v[96:97]
	v_fma_f64 v[96:97], v[100:101], s[2:3], v[96:97]
	v_add_f64 v[100:101], v[108:109], v[78:79]
	v_add_f64 v[108:109], v[76:77], v[74:75]
	v_fma_f64 v[74:75], v[106:107], s[2:3], v[102:103]
	v_fma_f64 v[96:97], v[98:99], s[6:7], v[96:97]
	v_add_f64 v[76:77], v[100:101], v[82:83]
	v_add_f64 v[78:79], v[108:109], v[80:81]
	v_fma_f64 v[80:81], v[106:107], s[14:15], v[102:103]
	v_fma_f64 v[82:83], v[98:99], s[0:1], v[112:113]
	v_add_f64 v[98:99], v[68:69], v[70:71]
	v_fma_f64 v[70:71], v[104:105], s[6:7], v[74:75]
	v_add_f64 v[102:103], v[52:53], -v[64:65]
	v_add_f64 v[108:109], v[56:57], -v[66:67]
	v_add_f64 v[112:113], v[128:129], v[56:57]
	s_waitcnt vmcnt(0)
	v_mov_b32_e32 v1, v0
	v_fma_f64 v[74:75], v[104:105], s[0:1], v[80:81]
	v_fma_f64 v[68:69], v[72:73], s[12:13], v[82:83]
	v_add_f64 v[80:81], v[56:57], -v[62:63]
	v_add_f64 v[82:83], v[66:67], -v[60:61]
	v_fma_f64 v[72:73], v[72:73], s[12:13], v[96:97]
	v_fma_f64 v[70:71], v[98:99], s[12:13], v[70:71]
	v_add_f64 v[104:105], v[54:55], -v[58:59]
	v_add_f64 v[112:113], v[112:113], v[62:63]
	v_fma_f64 v[74:75], v[98:99], s[12:13], v[74:75]
	v_add_f64 v[96:97], v[80:81], v[82:83]
	v_add_f64 v[80:81], v[52:53], -v[54:55]
	v_add_f64 v[82:83], v[64:65], -v[58:59]
	v_add_f64 v[98:99], v[80:81], v[82:83]
	v_add_f64 v[80:81], v[62:63], v[60:61]
	;; [unrolled: 1-line block ×3, first 2 shown]
	v_fma_f64 v[100:101], v[80:81], -0.5, v[128:129]
	v_fma_f64 v[106:107], v[82:83], -0.5, v[130:131]
	v_fma_f64 v[80:81], v[102:103], s[2:3], v[100:101]
	v_fma_f64 v[100:101], v[102:103], s[14:15], v[100:101]
	;; [unrolled: 1-line block ×10, first 2 shown]
	v_add_f64 v[100:101], v[56:57], v[66:67]
	v_fma_f64 v[82:83], v[98:99], s[12:13], v[82:83]
	v_fma_f64 v[98:99], v[98:99], s[12:13], v[106:107]
	v_add_f64 v[106:107], v[52:53], v[64:65]
	v_add_f64 v[56:57], v[62:63], -v[56:57]
	v_add_f64 v[62:63], v[114:115], v[54:55]
	v_add_f64 v[52:53], v[54:55], -v[52:53]
	v_add_f64 v[54:55], v[58:59], -v[64:65]
	v_fma_f64 v[100:101], v[100:101], -0.5, v[128:129]
	v_add_f64 v[114:115], v[44:45], -v[46:47]
	v_fma_f64 v[106:107], v[106:107], -0.5, v[130:131]
	v_add_f64 v[62:63], v[62:63], v[58:59]
	v_fma_f64 v[116:117], v[104:105], s[14:15], v[100:101]
	v_fma_f64 v[100:101], v[104:105], s[2:3], v[100:101]
	v_add_f64 v[104:105], v[112:113], v[60:61]
	v_add_f64 v[112:113], v[60:61], -v[66:67]
	v_fma_f64 v[58:59], v[110:111], s[2:3], v[106:107]
	v_add_f64 v[62:63], v[62:63], v[64:65]
	v_fma_f64 v[64:65], v[110:111], s[14:15], v[106:107]
	v_add_f64 v[106:107], v[36:37], -v[48:49]
	v_fma_f64 v[100:101], v[102:103], s[6:7], v[100:101]
	v_add_f64 v[60:61], v[104:105], v[66:67]
	v_add_f64 v[56:57], v[56:57], v[112:113]
	v_fma_f64 v[66:67], v[102:103], s[0:1], v[116:117]
	v_add_f64 v[102:103], v[52:53], v[54:55]
	v_fma_f64 v[54:55], v[108:109], s[6:7], v[58:59]
	v_fma_f64 v[58:59], v[108:109], s[0:1], v[64:65]
	v_add_f64 v[64:65], v[40:41], -v[44:45]
	v_add_f64 v[108:109], v[38:39], -v[42:43]
	v_add_f64 v[112:113], v[40:41], -v[50:51]
	v_add_f64 v[116:117], v[132:133], v[40:41]
	v_fma_f64 v[52:53], v[56:57], s[12:13], v[66:67]
	v_add_f64 v[66:67], v[50:51], -v[46:47]
	v_fma_f64 v[56:57], v[56:57], s[12:13], v[100:101]
	v_fma_f64 v[54:55], v[102:103], s[12:13], v[54:55]
	;; [unrolled: 1-line block ×3, first 2 shown]
	v_add_f64 v[116:117], v[116:117], v[44:45]
	v_add_f64 v[100:101], v[64:65], v[66:67]
	v_add_f64 v[64:65], v[36:37], -v[38:39]
	v_add_f64 v[66:67], v[48:49], -v[42:43]
	v_add_f64 v[102:103], v[64:65], v[66:67]
	v_add_f64 v[64:65], v[44:45], v[46:47]
	;; [unrolled: 1-line block ×3, first 2 shown]
	v_fma_f64 v[104:105], v[64:65], -0.5, v[132:133]
	v_fma_f64 v[110:111], v[66:67], -0.5, v[134:135]
	v_fma_f64 v[64:65], v[106:107], s[2:3], v[104:105]
	v_fma_f64 v[104:105], v[106:107], s[14:15], v[104:105]
	;; [unrolled: 1-line block ×10, first 2 shown]
	v_add_f64 v[104:105], v[40:41], v[50:51]
	v_fma_f64 v[66:67], v[102:103], s[12:13], v[66:67]
	v_fma_f64 v[102:103], v[102:103], s[12:13], v[110:111]
	v_add_f64 v[110:111], v[36:37], v[48:49]
	v_add_f64 v[40:41], v[44:45], -v[40:41]
	v_add_f64 v[44:45], v[118:119], v[38:39]
	v_add_f64 v[118:119], v[46:47], -v[50:51]
	v_add_f64 v[36:37], v[38:39], -v[36:37]
	v_fma_f64 v[104:105], v[104:105], -0.5, v[132:133]
	v_add_f64 v[38:39], v[42:43], -v[48:49]
	v_fma_f64 v[110:111], v[110:111], -0.5, v[134:135]
	v_add_f64 v[40:41], v[40:41], v[118:119]
	v_add_f64 v[118:119], v[30:31], -v[28:29]
	v_fma_f64 v[120:121], v[108:109], s[14:15], v[104:105]
	v_fma_f64 v[104:105], v[108:109], s[2:3], v[104:105]
	v_add_f64 v[108:109], v[116:117], v[46:47]
	v_add_f64 v[116:117], v[44:45], v[42:43]
	v_fma_f64 v[42:43], v[114:115], s[2:3], v[110:111]
	v_fma_f64 v[104:105], v[106:107], s[6:7], v[104:105]
	v_add_f64 v[44:45], v[108:109], v[50:51]
	v_add_f64 v[46:47], v[116:117], v[48:49]
	v_fma_f64 v[48:49], v[114:115], s[14:15], v[110:111]
	v_fma_f64 v[50:51], v[106:107], s[0:1], v[120:121]
	v_add_f64 v[106:107], v[36:37], v[38:39]
	v_fma_f64 v[38:39], v[112:113], s[6:7], v[42:43]
	v_add_f64 v[116:117], v[24:25], -v[34:35]
	v_add_f64 v[110:111], v[20:21], -v[32:33]
	v_fma_f64 v[42:43], v[112:113], s[0:1], v[48:49]
	v_fma_f64 v[36:37], v[40:41], s[12:13], v[50:51]
	v_add_f64 v[48:49], v[24:25], -v[30:31]
	v_add_f64 v[50:51], v[34:35], -v[28:29]
	v_fma_f64 v[40:41], v[40:41], s[12:13], v[104:105]
	v_fma_f64 v[38:39], v[106:107], s[12:13], v[38:39]
	v_add_f64 v[112:113], v[22:23], -v[26:27]
	v_fma_f64 v[42:43], v[106:107], s[12:13], v[42:43]
	v_add_f64 v[104:105], v[48:49], v[50:51]
	v_add_f64 v[48:49], v[20:21], -v[22:23]
	v_add_f64 v[50:51], v[32:33], -v[26:27]
	v_add_f64 v[106:107], v[48:49], v[50:51]
	v_add_f64 v[50:51], v[22:23], v[26:27]
	;; [unrolled: 1-line block ×3, first 2 shown]
	v_fma_f64 v[114:115], v[50:51], -0.5, v[14:15]
	v_fma_f64 v[108:109], v[48:49], -0.5, v[12:13]
	v_fma_f64 v[50:51], v[116:117], s[14:15], v[114:115]
	v_fma_f64 v[114:115], v[116:117], s[2:3], v[114:115]
	;; [unrolled: 1-line block ×10, first 2 shown]
	v_add_f64 v[114:115], v[20:21], v[32:33]
	v_fma_f64 v[48:49], v[104:105], s[12:13], v[48:49]
	v_fma_f64 v[104:105], v[104:105], s[12:13], v[108:109]
	v_add_f64 v[108:109], v[24:25], v[34:35]
	v_fma_f64 v[114:115], v[114:115], -0.5, v[14:15]
	v_add_f64 v[14:15], v[14:15], v[20:21]
	v_add_f64 v[20:21], v[22:23], -v[20:21]
	v_fma_f64 v[108:109], v[108:109], -0.5, v[12:13]
	v_add_f64 v[12:13], v[12:13], v[24:25]
	v_add_f64 v[24:25], v[30:31], -v[24:25]
	v_add_f64 v[14:15], v[14:15], v[22:23]
	v_add_f64 v[22:23], v[26:27], -v[32:33]
	v_add_f64 v[12:13], v[12:13], v[30:31]
	v_fma_f64 v[30:31], v[112:113], s[14:15], v[108:109]
	v_fma_f64 v[108:109], v[112:113], s[2:3], v[108:109]
	v_add_f64 v[14:15], v[14:15], v[26:27]
	v_fma_f64 v[26:27], v[118:119], s[2:3], v[114:115]
	v_add_f64 v[12:13], v[12:13], v[28:29]
	v_add_f64 v[28:29], v[28:29], -v[34:35]
	v_add_f64 v[14:15], v[14:15], v[32:33]
	v_fma_f64 v[32:33], v[118:119], s[14:15], v[114:115]
	v_add_f64 v[12:13], v[12:13], v[34:35]
	v_add_f64 v[24:25], v[24:25], v[28:29]
	v_fma_f64 v[28:29], v[110:111], s[0:1], v[30:31]
	v_fma_f64 v[30:31], v[110:111], s[6:7], v[108:109]
	v_add_f64 v[34:35], v[20:21], v[22:23]
	v_fma_f64 v[22:23], v[116:117], s[6:7], v[26:27]
	v_fma_f64 v[26:27], v[116:117], s[0:1], v[32:33]
	;; [unrolled: 1-line block ×4, first 2 shown]
	v_mad_u64_u32 v[28:29], s[0:1], s10, v1, 0
	v_fma_f64 v[22:23], v[34:35], s[12:13], v[22:23]
	v_fma_f64 v[26:27], v[34:35], s[12:13], v[26:27]
	ds_write_b128 v255, v[16:19] offset:3808
	ds_write_b128 v255, v[84:87] offset:5712
	;; [unrolled: 1-line block ×23, first 2 shown]
	s_waitcnt lgkmcnt(0)
	; wave barrier
	s_waitcnt lgkmcnt(0)
	ds_read_b128 v[4:7], v212
	buffer_load_dword v16, off, s[60:63], 0 offset:380 ; 4-byte Folded Reload
	buffer_load_dword v17, off, s[60:63], 0 offset:384 ; 4-byte Folded Reload
	;; [unrolled: 1-line block ×4, first 2 shown]
	v_mov_b32_e32 v0, v29
	v_mad_u64_u32 v[10:11], s[0:1], s11, v1, v[0:1]
	ds_read_b128 v[0:3], v212 offset:272
	v_mov_b32_e32 v24, s5
	v_mov_b32_e32 v29, v10
	s_mul_hi_u32 s5, s8, 0xffffe130
	s_sub_i32 s5, s5, s8
	s_waitcnt vmcnt(0) lgkmcnt(1)
	v_mul_f64 v[8:9], v[18:19], v[6:7]
	v_mul_f64 v[14:15], v[18:19], v[4:5]
	v_lshlrev_b64 v[18:19], 4, v[28:29]
	v_add_co_u32_e32 v48, vcc, s4, v18
	v_addc_co_u32_e32 v49, vcc, v24, v19, vcc
	v_fma_f64 v[4:5], v[16:17], v[4:5], v[8:9]
	buffer_load_dword v9, off, s[60:63], 0  ; 4-byte Folded Reload
	v_fma_f64 v[6:7], v[16:17], v[6:7], -v[14:15]
	s_mul_i32 s4, s9, 0xffffe130
	s_add_i32 s5, s5, s4
	s_mul_i32 s4, s8, 0xffffe130
	s_waitcnt vmcnt(0)
	v_mad_u64_u32 v[12:13], s[0:1], s8, v9, 0
	s_mov_b32 s0, 0x1b89401c
	s_mov_b32 s1, 0x3f5b8940
	v_mov_b32_e32 v8, v13
	v_mad_u64_u32 v[13:14], s[2:3], s9, v9, v[8:9]
	ds_read_b128 v[14:17], v212 offset:1088
	ds_read_b128 v[8:11], v212 offset:1360
	buffer_load_dword v25, off, s[60:63], 0 offset:292 ; 4-byte Folded Reload
	buffer_load_dword v26, off, s[60:63], 0 offset:296 ; 4-byte Folded Reload
	;; [unrolled: 1-line block ×4, first 2 shown]
	v_mul_f64 v[4:5], v[4:5], s[0:1]
	v_mul_f64 v[6:7], v[6:7], s[0:1]
	v_lshlrev_b64 v[12:13], 4, v[12:13]
	s_mul_i32 s2, s9, 0x550
	v_add_co_u32_e32 v12, vcc, v48, v12
	v_addc_co_u32_e32 v13, vcc, v49, v13, vcc
	s_mul_hi_u32 s3, s8, 0x550
	global_store_dwordx4 v[12:13], v[4:7], off
	s_add_i32 s2, s3, s2
	s_mul_i32 s3, s8, 0x550
	v_mov_b32_e32 v34, s2
	v_add_co_u32_e32 v12, vcc, s3, v12
	v_addc_co_u32_e32 v13, vcc, v13, v34, vcc
	s_waitcnt vmcnt(1) lgkmcnt(0)
	v_mul_f64 v[20:21], v[27:28], v[10:11]
	v_mul_f64 v[22:23], v[27:28], v[8:9]
	v_fma_f64 v[18:19], v[25:26], v[8:9], v[20:21]
	v_fma_f64 v[20:21], v[25:26], v[10:11], -v[22:23]
	ds_read_b128 v[8:11], v212 offset:2720
	v_mul_f64 v[4:5], v[18:19], s[0:1]
	v_mul_f64 v[6:7], v[20:21], s[0:1]
	ds_read_b128 v[18:21], v212 offset:2992
	buffer_load_dword v30, off, s[60:63], 0 offset:340 ; 4-byte Folded Reload
	buffer_load_dword v31, off, s[60:63], 0 offset:344 ; 4-byte Folded Reload
	;; [unrolled: 1-line block ×4, first 2 shown]
	ds_read_b128 v[22:25], v212 offset:4080
	s_waitcnt vmcnt(0) lgkmcnt(2)
	v_mul_f64 v[26:27], v[32:33], v[10:11]
	v_mul_f64 v[28:29], v[32:33], v[8:9]
	v_fma_f64 v[26:27], v[30:31], v[8:9], v[26:27]
	v_fma_f64 v[28:29], v[30:31], v[10:11], -v[28:29]
	ds_read_b128 v[8:11], v212 offset:3808
	buffer_load_dword v35, off, s[60:63], 0 offset:308 ; 4-byte Folded Reload
	buffer_load_dword v36, off, s[60:63], 0 offset:312 ; 4-byte Folded Reload
	;; [unrolled: 1-line block ×4, first 2 shown]
	s_waitcnt vmcnt(0) lgkmcnt(1)
	v_mul_f64 v[30:31], v[37:38], v[24:25]
	v_mul_f64 v[32:33], v[37:38], v[22:23]
	global_store_dwordx4 v[12:13], v[4:7], off
	v_mov_b32_e32 v38, s2
	v_mul_f64 v[4:5], v[26:27], s[0:1]
	v_mul_f64 v[6:7], v[28:29], s[0:1]
	ds_read_b128 v[26:29], v212 offset:5440
	v_add_co_u32_e32 v12, vcc, s3, v12
	v_fma_f64 v[30:31], v[35:36], v[22:23], v[30:31]
	v_fma_f64 v[32:33], v[35:36], v[24:25], -v[32:33]
	ds_read_b128 v[22:25], v212 offset:5712
	buffer_load_dword v39, off, s[60:63], 0 offset:668 ; 4-byte Folded Reload
	buffer_load_dword v40, off, s[60:63], 0 offset:672 ; 4-byte Folded Reload
	;; [unrolled: 1-line block ×4, first 2 shown]
	v_addc_co_u32_e32 v13, vcc, v13, v38, vcc
	global_store_dwordx4 v[12:13], v[4:7], off
	v_add_co_u32_e32 v12, vcc, s3, v12
	v_mul_f64 v[4:5], v[30:31], s[0:1]
	v_mul_f64 v[6:7], v[32:33], s[0:1]
	ds_read_b128 v[30:33], v212 offset:6800
	s_waitcnt vmcnt(1) lgkmcnt(2)
	v_mul_f64 v[34:35], v[41:42], v[28:29]
	v_mul_f64 v[36:37], v[41:42], v[26:27]
	v_mov_b32_e32 v42, s2
	v_addc_co_u32_e32 v13, vcc, v13, v42, vcc
	v_fma_f64 v[34:35], v[39:40], v[26:27], v[34:35]
	v_fma_f64 v[36:37], v[39:40], v[28:29], -v[36:37]
	ds_read_b128 v[26:29], v212 offset:6528
	buffer_load_dword v43, off, s[60:63], 0 offset:444 ; 4-byte Folded Reload
	buffer_load_dword v44, off, s[60:63], 0 offset:448 ; 4-byte Folded Reload
	;; [unrolled: 1-line block ×4, first 2 shown]
	s_waitcnt vmcnt(0) lgkmcnt(1)
	v_mul_f64 v[38:39], v[45:46], v[32:33]
	v_mul_f64 v[40:41], v[45:46], v[30:31]
	global_store_dwordx4 v[12:13], v[4:7], off
	v_mov_b32_e32 v46, s2
	v_mul_f64 v[4:5], v[34:35], s[0:1]
	v_mul_f64 v[6:7], v[36:37], s[0:1]
	ds_read_b128 v[34:37], v212 offset:8160
	v_add_co_u32_e32 v12, vcc, s3, v12
	v_fma_f64 v[38:39], v[43:44], v[30:31], v[38:39]
	v_fma_f64 v[40:41], v[43:44], v[32:33], -v[40:41]
	ds_read_b128 v[30:33], v212 offset:8432
	buffer_load_dword v50, off, s[60:63], 0 offset:428 ; 4-byte Folded Reload
	buffer_load_dword v51, off, s[60:63], 0 offset:432 ; 4-byte Folded Reload
	;; [unrolled: 1-line block ×4, first 2 shown]
	v_addc_co_u32_e32 v13, vcc, v13, v46, vcc
	global_store_dwordx4 v[12:13], v[4:7], off
	v_add_co_u32_e32 v12, vcc, s3, v12
	v_mul_f64 v[4:5], v[38:39], s[0:1]
	v_mul_f64 v[6:7], v[40:41], s[0:1]
	v_addc_co_u32_e32 v13, vcc, v13, v46, vcc
	s_waitcnt vmcnt(1) lgkmcnt(1)
	v_mul_f64 v[42:43], v[52:53], v[36:37]
	v_mul_f64 v[44:45], v[52:53], v[34:35]
	v_fma_f64 v[34:35], v[50:51], v[34:35], v[42:43]
	v_fma_f64 v[36:37], v[50:51], v[36:37], -v[44:45]
	buffer_load_dword v50, off, s[60:63], 0 offset:324 ; 4-byte Folded Reload
	buffer_load_dword v51, off, s[60:63], 0 offset:328 ; 4-byte Folded Reload
	;; [unrolled: 1-line block ×4, first 2 shown]
	v_mov_b32_e32 v42, s2
	global_store_dwordx4 v[12:13], v[4:7], off
	v_add_co_u32_e32 v12, vcc, s3, v12
	v_addc_co_u32_e32 v13, vcc, v13, v42, vcc
	v_mul_f64 v[4:5], v[34:35], s[0:1]
	v_mul_f64 v[6:7], v[36:37], s[0:1]
	v_mov_b32_e32 v42, s5
	global_store_dwordx4 v[12:13], v[4:7], off
	v_add_co_u32_e32 v12, vcc, s4, v12
	v_addc_co_u32_e32 v13, vcc, v13, v42, vcc
	s_waitcnt vmcnt(2)
	v_mul_f64 v[38:39], v[52:53], v[2:3]
	v_mul_f64 v[40:41], v[52:53], v[0:1]
	v_fma_f64 v[34:35], v[50:51], v[0:1], v[38:39]
	v_fma_f64 v[36:37], v[50:51], v[2:3], -v[40:41]
	ds_read_b128 v[0:3], v212 offset:1632
	v_mul_f64 v[4:5], v[34:35], s[0:1]
	v_mul_f64 v[6:7], v[36:37], s[0:1]
	ds_read_b128 v[34:37], v212 offset:1904
	buffer_load_dword v43, off, s[60:63], 0 offset:684 ; 4-byte Folded Reload
	buffer_load_dword v44, off, s[60:63], 0 offset:688 ; 4-byte Folded Reload
	;; [unrolled: 1-line block ×4, first 2 shown]
	s_waitcnt vmcnt(0) lgkmcnt(1)
	v_mul_f64 v[38:39], v[45:46], v[2:3]
	v_mul_f64 v[40:41], v[45:46], v[0:1]
	v_fma_f64 v[0:1], v[43:44], v[0:1], v[38:39]
	v_fma_f64 v[2:3], v[43:44], v[2:3], -v[40:41]
	buffer_load_dword v43, off, s[60:63], 0 offset:636 ; 4-byte Folded Reload
	buffer_load_dword v44, off, s[60:63], 0 offset:640 ; 4-byte Folded Reload
	;; [unrolled: 1-line block ×4, first 2 shown]
	v_mul_f64 v[0:1], v[0:1], s[0:1]
	global_store_dwordx4 v[12:13], v[4:7], off
	ds_read_b128 v[4:7], v212 offset:4352
	v_mul_f64 v[2:3], v[2:3], s[0:1]
	v_add_co_u32_e32 v12, vcc, s3, v12
	s_waitcnt vmcnt(1)
	v_mul_f64 v[38:39], v[45:46], v[20:21]
	v_mul_f64 v[40:41], v[45:46], v[18:19]
	v_mov_b32_e32 v46, s2
	v_addc_co_u32_e32 v13, vcc, v13, v46, vcc
	v_fma_f64 v[38:39], v[43:44], v[18:19], v[38:39]
	v_fma_f64 v[40:41], v[43:44], v[20:21], -v[40:41]
	ds_read_b128 v[18:21], v212 offset:4624
	buffer_load_dword v50, off, s[60:63], 0 offset:604 ; 4-byte Folded Reload
	buffer_load_dword v51, off, s[60:63], 0 offset:608 ; 4-byte Folded Reload
	;; [unrolled: 1-line block ×4, first 2 shown]
	s_waitcnt vmcnt(0) lgkmcnt(1)
	v_mul_f64 v[42:43], v[52:53], v[6:7]
	v_mul_f64 v[44:45], v[52:53], v[4:5]
	global_store_dwordx4 v[12:13], v[0:3], off
	v_add_co_u32_e32 v12, vcc, s3, v12
	v_mul_f64 v[0:1], v[38:39], s[0:1]
	v_mul_f64 v[2:3], v[40:41], s[0:1]
	v_addc_co_u32_e32 v13, vcc, v13, v46, vcc
	v_fma_f64 v[4:5], v[50:51], v[4:5], v[42:43]
	v_fma_f64 v[6:7], v[50:51], v[6:7], -v[44:45]
	buffer_load_dword v42, off, s[60:63], 0 offset:588 ; 4-byte Folded Reload
	buffer_load_dword v43, off, s[60:63], 0 offset:592 ; 4-byte Folded Reload
	buffer_load_dword v44, off, s[60:63], 0 offset:596 ; 4-byte Folded Reload
	buffer_load_dword v45, off, s[60:63], 0 offset:600 ; 4-byte Folded Reload
	s_waitcnt vmcnt(0)
	v_mul_f64 v[38:39], v[44:45], v[24:25]
	v_mul_f64 v[40:41], v[44:45], v[22:23]
	global_store_dwordx4 v[12:13], v[0:3], off
	v_add_co_u32_e32 v12, vcc, s3, v12
	v_mul_f64 v[0:1], v[4:5], s[0:1]
	v_mul_f64 v[2:3], v[6:7], s[0:1]
	ds_read_b128 v[4:7], v212 offset:7072
	v_fma_f64 v[38:39], v[42:43], v[22:23], v[38:39]
	v_fma_f64 v[40:41], v[42:43], v[24:25], -v[40:41]
	ds_read_b128 v[22:25], v212 offset:7344
	buffer_load_dword v50, off, s[60:63], 0 offset:556 ; 4-byte Folded Reload
	buffer_load_dword v51, off, s[60:63], 0 offset:560 ; 4-byte Folded Reload
	;; [unrolled: 1-line block ×4, first 2 shown]
	v_addc_co_u32_e32 v13, vcc, v13, v46, vcc
	global_store_dwordx4 v[12:13], v[0:3], off
	v_add_co_u32_e32 v12, vcc, s3, v12
	v_mul_f64 v[0:1], v[38:39], s[0:1]
	v_mul_f64 v[2:3], v[40:41], s[0:1]
	v_addc_co_u32_e32 v13, vcc, v13, v46, vcc
	s_waitcnt vmcnt(1) lgkmcnt(1)
	v_mul_f64 v[42:43], v[52:53], v[6:7]
	v_mul_f64 v[44:45], v[52:53], v[4:5]
	v_fma_f64 v[4:5], v[50:51], v[4:5], v[42:43]
	v_fma_f64 v[6:7], v[50:51], v[6:7], -v[44:45]
	buffer_load_dword v42, off, s[60:63], 0 offset:540 ; 4-byte Folded Reload
	buffer_load_dword v43, off, s[60:63], 0 offset:544 ; 4-byte Folded Reload
	buffer_load_dword v44, off, s[60:63], 0 offset:548 ; 4-byte Folded Reload
	buffer_load_dword v45, off, s[60:63], 0 offset:552 ; 4-byte Folded Reload
	s_waitcnt vmcnt(0)
	v_mul_f64 v[38:39], v[44:45], v[32:33]
	v_mul_f64 v[40:41], v[44:45], v[30:31]
	global_store_dwordx4 v[12:13], v[0:3], off
	v_add_co_u32_e32 v12, vcc, s3, v12
	v_mul_f64 v[0:1], v[4:5], s[0:1]
	v_mul_f64 v[2:3], v[6:7], s[0:1]
	ds_read_b128 v[4:7], v212 offset:544
	v_fma_f64 v[38:39], v[42:43], v[30:31], v[38:39]
	v_fma_f64 v[40:41], v[42:43], v[32:33], -v[40:41]
	ds_read_b128 v[30:33], v212 offset:816
	buffer_load_dword v50, off, s[60:63], 0 offset:524 ; 4-byte Folded Reload
	buffer_load_dword v51, off, s[60:63], 0 offset:528 ; 4-byte Folded Reload
	;; [unrolled: 1-line block ×4, first 2 shown]
	v_addc_co_u32_e32 v13, vcc, v13, v46, vcc
	global_store_dwordx4 v[12:13], v[0:3], off
	v_add_co_u32_e32 v12, vcc, s3, v12
	v_mul_f64 v[0:1], v[38:39], s[0:1]
	v_mul_f64 v[2:3], v[40:41], s[0:1]
	v_addc_co_u32_e32 v13, vcc, v13, v46, vcc
	v_mov_b32_e32 v46, s5
	s_waitcnt vmcnt(1) lgkmcnt(1)
	v_mul_f64 v[42:43], v[52:53], v[6:7]
	v_mul_f64 v[44:45], v[52:53], v[4:5]
	v_fma_f64 v[4:5], v[50:51], v[4:5], v[42:43]
	v_fma_f64 v[6:7], v[50:51], v[6:7], -v[44:45]
	buffer_load_dword v42, off, s[60:63], 0 offset:508 ; 4-byte Folded Reload
	buffer_load_dword v43, off, s[60:63], 0 offset:512 ; 4-byte Folded Reload
	;; [unrolled: 1-line block ×4, first 2 shown]
	s_waitcnt vmcnt(0)
	v_mul_f64 v[38:39], v[44:45], v[36:37]
	v_mul_f64 v[40:41], v[44:45], v[34:35]
	global_store_dwordx4 v[12:13], v[0:3], off
	v_add_co_u32_e32 v12, vcc, s4, v12
	v_mul_f64 v[0:1], v[4:5], s[0:1]
	v_mul_f64 v[2:3], v[6:7], s[0:1]
	ds_read_b128 v[4:7], v212 offset:3264
	v_fma_f64 v[38:39], v[42:43], v[34:35], v[38:39]
	v_fma_f64 v[40:41], v[42:43], v[36:37], -v[40:41]
	ds_read_b128 v[34:37], v212 offset:3536
	buffer_load_dword v50, off, s[60:63], 0 offset:492 ; 4-byte Folded Reload
	buffer_load_dword v51, off, s[60:63], 0 offset:496 ; 4-byte Folded Reload
	buffer_load_dword v52, off, s[60:63], 0 offset:500 ; 4-byte Folded Reload
	buffer_load_dword v53, off, s[60:63], 0 offset:504 ; 4-byte Folded Reload
	v_addc_co_u32_e32 v13, vcc, v13, v46, vcc
	global_store_dwordx4 v[12:13], v[0:3], off
	v_mov_b32_e32 v46, s2
	v_mul_f64 v[0:1], v[38:39], s[0:1]
	v_mul_f64 v[2:3], v[40:41], s[0:1]
	v_add_co_u32_e32 v12, vcc, s3, v12
	v_addc_co_u32_e32 v13, vcc, v13, v46, vcc
	s_waitcnt vmcnt(1) lgkmcnt(1)
	v_mul_f64 v[42:43], v[52:53], v[6:7]
	v_mul_f64 v[44:45], v[52:53], v[4:5]
	v_fma_f64 v[4:5], v[50:51], v[4:5], v[42:43]
	v_fma_f64 v[6:7], v[50:51], v[6:7], -v[44:45]
	buffer_load_dword v42, off, s[60:63], 0 offset:460 ; 4-byte Folded Reload
	buffer_load_dword v43, off, s[60:63], 0 offset:464 ; 4-byte Folded Reload
	;; [unrolled: 1-line block ×4, first 2 shown]
	s_waitcnt vmcnt(0)
	v_mul_f64 v[38:39], v[44:45], v[20:21]
	v_mul_f64 v[40:41], v[44:45], v[18:19]
	global_store_dwordx4 v[12:13], v[0:3], off
	v_add_co_u32_e32 v12, vcc, s3, v12
	v_mul_f64 v[0:1], v[4:5], s[0:1]
	v_mul_f64 v[2:3], v[6:7], s[0:1]
	ds_read_b128 v[4:7], v212 offset:5984
	v_fma_f64 v[38:39], v[42:43], v[18:19], v[38:39]
	v_fma_f64 v[40:41], v[42:43], v[20:21], -v[40:41]
	ds_read_b128 v[18:21], v212 offset:6256
	buffer_load_dword v50, off, s[60:63], 0 offset:476 ; 4-byte Folded Reload
	buffer_load_dword v51, off, s[60:63], 0 offset:480 ; 4-byte Folded Reload
	;; [unrolled: 1-line block ×4, first 2 shown]
	v_addc_co_u32_e32 v13, vcc, v13, v46, vcc
	global_store_dwordx4 v[12:13], v[0:3], off
	v_add_co_u32_e32 v12, vcc, s3, v12
	v_mul_f64 v[0:1], v[38:39], s[0:1]
	v_mul_f64 v[2:3], v[40:41], s[0:1]
	v_addc_co_u32_e32 v13, vcc, v13, v46, vcc
	s_waitcnt vmcnt(1) lgkmcnt(1)
	v_mul_f64 v[42:43], v[52:53], v[6:7]
	v_mul_f64 v[44:45], v[52:53], v[4:5]
	v_fma_f64 v[4:5], v[50:51], v[4:5], v[42:43]
	v_fma_f64 v[6:7], v[50:51], v[6:7], -v[44:45]
	buffer_load_dword v50, off, s[60:63], 0 offset:796 ; 4-byte Folded Reload
	buffer_load_dword v51, off, s[60:63], 0 offset:800 ; 4-byte Folded Reload
	;; [unrolled: 1-line block ×4, first 2 shown]
	v_mov_b32_e32 v42, s2
	global_store_dwordx4 v[12:13], v[0:3], off
	v_add_co_u32_e32 v12, vcc, s3, v12
	v_addc_co_u32_e32 v13, vcc, v13, v42, vcc
	v_mul_f64 v[0:1], v[4:5], s[0:1]
	v_mul_f64 v[2:3], v[6:7], s[0:1]
	v_mov_b32_e32 v44, s2
	global_store_dwordx4 v[12:13], v[0:3], off
	ds_read_b128 v[0:3], v212 offset:8704
	v_add_co_u32_e32 v12, vcc, s3, v12
	v_addc_co_u32_e32 v13, vcc, v13, v44, vcc
	s_waitcnt vmcnt(2)
	v_mul_f64 v[38:39], v[52:53], v[24:25]
	v_mul_f64 v[40:41], v[52:53], v[22:23]
	v_fma_f64 v[4:5], v[50:51], v[22:23], v[38:39]
	v_fma_f64 v[6:7], v[50:51], v[24:25], -v[40:41]
	ds_read_b128 v[22:25], v212 offset:8976
	buffer_load_dword v50, off, s[60:63], 0 offset:848 ; 4-byte Folded Reload
	buffer_load_dword v51, off, s[60:63], 0 offset:852 ; 4-byte Folded Reload
	buffer_load_dword v52, off, s[60:63], 0 offset:856 ; 4-byte Folded Reload
	buffer_load_dword v53, off, s[60:63], 0 offset:860 ; 4-byte Folded Reload
	buffer_load_dword v46, off, s[60:63], 0 offset:828 ; 4-byte Folded Reload
	v_mul_f64 v[4:5], v[4:5], s[0:1]
	v_mul_f64 v[6:7], v[6:7], s[0:1]
	s_waitcnt vmcnt(1) lgkmcnt(1)
	v_mul_f64 v[38:39], v[52:53], v[2:3]
	v_mul_f64 v[40:41], v[52:53], v[0:1]
	s_waitcnt vmcnt(0)
	v_mad_u64_u32 v[42:43], s[6:7], s8, v46, 0
	v_fma_f64 v[0:1], v[50:51], v[0:1], v[38:39]
	v_fma_f64 v[2:3], v[50:51], v[2:3], -v[40:41]
	buffer_load_dword v50, off, s[60:63], 0 offset:780 ; 4-byte Folded Reload
	buffer_load_dword v51, off, s[60:63], 0 offset:784 ; 4-byte Folded Reload
	;; [unrolled: 1-line block ×4, first 2 shown]
	v_mov_b32_e32 v38, v43
	global_store_dwordx4 v[12:13], v[4:7], off
	ds_read_b128 v[4:7], v212 offset:2176
	v_mul_f64 v[0:1], v[0:1], s[0:1]
	v_mul_f64 v[2:3], v[2:3], s[0:1]
	s_waitcnt vmcnt(1)
	v_mul_f64 v[39:40], v[52:53], v[32:33]
	v_mul_f64 v[44:45], v[52:53], v[30:31]
	v_mad_u64_u32 v[46:47], s[6:7], s9, v46, v[38:39]
	v_fma_f64 v[38:39], v[50:51], v[30:31], v[39:40]
	v_mov_b32_e32 v43, v46
	v_lshlrev_b64 v[41:42], 4, v[42:43]
	v_fma_f64 v[43:44], v[50:51], v[32:33], -v[44:45]
	ds_read_b128 v[30:33], v212 offset:2448
	v_add_co_u32_e32 v40, vcc, v48, v41
	v_addc_co_u32_e32 v41, vcc, v49, v42, vcc
	buffer_load_dword v49, off, s[60:63], 0 offset:832 ; 4-byte Folded Reload
	buffer_load_dword v50, off, s[60:63], 0 offset:836 ; 4-byte Folded Reload
	;; [unrolled: 1-line block ×4, first 2 shown]
	s_waitcnt vmcnt(0) lgkmcnt(1)
	v_mul_f64 v[45:46], v[51:52], v[6:7]
	global_store_dwordx4 v[40:41], v[0:3], off
	v_mul_f64 v[47:48], v[51:52], v[4:5]
	v_mul_f64 v[2:3], v[43:44], s[0:1]
	;; [unrolled: 1-line block ×3, first 2 shown]
	v_mov_b32_e32 v38, 0xffffe680
	v_mad_u64_u32 v[12:13], s[6:7], s8, v38, v[12:13]
	v_fma_f64 v[4:5], v[49:50], v[4:5], v[45:46]
	buffer_load_dword v42, off, s[60:63], 0 offset:748 ; 4-byte Folded Reload
	buffer_load_dword v43, off, s[60:63], 0 offset:752 ; 4-byte Folded Reload
	;; [unrolled: 1-line block ×4, first 2 shown]
	v_fma_f64 v[6:7], v[49:50], v[6:7], -v[47:48]
	s_mul_i32 s6, s9, 0xffffe680
	s_sub_i32 s6, s6, s8
	v_add_u32_e32 v13, s6, v13
	global_store_dwordx4 v[12:13], v[0:3], off
	v_mov_b32_e32 v46, s2
	v_mul_f64 v[0:1], v[4:5], s[0:1]
	v_add_co_u32_e32 v12, vcc, s3, v12
	v_mul_f64 v[2:3], v[6:7], s[0:1]
	ds_read_b128 v[4:7], v212 offset:4896
	v_addc_co_u32_e32 v13, vcc, v13, v46, vcc
	s_waitcnt vmcnt(1)
	v_mul_f64 v[38:39], v[44:45], v[36:37]
	v_mul_f64 v[40:41], v[44:45], v[34:35]
	v_fma_f64 v[38:39], v[42:43], v[34:35], v[38:39]
	v_fma_f64 v[40:41], v[42:43], v[36:37], -v[40:41]
	ds_read_b128 v[34:37], v212 offset:5168
	buffer_load_dword v47, off, s[60:63], 0 offset:812 ; 4-byte Folded Reload
	buffer_load_dword v48, off, s[60:63], 0 offset:816 ; 4-byte Folded Reload
	;; [unrolled: 1-line block ×4, first 2 shown]
	s_waitcnt vmcnt(0) lgkmcnt(1)
	v_mul_f64 v[42:43], v[49:50], v[6:7]
	v_mul_f64 v[44:45], v[49:50], v[4:5]
	global_store_dwordx4 v[12:13], v[0:3], off
	v_add_co_u32_e32 v12, vcc, s3, v12
	v_mul_f64 v[0:1], v[38:39], s[0:1]
	v_mul_f64 v[2:3], v[40:41], s[0:1]
	v_addc_co_u32_e32 v13, vcc, v13, v46, vcc
	v_fma_f64 v[4:5], v[47:48], v[4:5], v[42:43]
	v_fma_f64 v[6:7], v[47:48], v[6:7], -v[44:45]
	buffer_load_dword v42, off, s[60:63], 0 offset:732 ; 4-byte Folded Reload
	buffer_load_dword v43, off, s[60:63], 0 offset:736 ; 4-byte Folded Reload
	;; [unrolled: 1-line block ×4, first 2 shown]
	s_waitcnt vmcnt(0)
	v_mul_f64 v[38:39], v[44:45], v[20:21]
	v_mul_f64 v[40:41], v[44:45], v[18:19]
	global_store_dwordx4 v[12:13], v[0:3], off
	v_add_co_u32_e32 v12, vcc, s3, v12
	v_mul_f64 v[0:1], v[4:5], s[0:1]
	v_mul_f64 v[2:3], v[6:7], s[0:1]
	ds_read_b128 v[4:7], v212 offset:7616
	v_fma_f64 v[38:39], v[42:43], v[18:19], v[38:39]
	v_fma_f64 v[40:41], v[42:43], v[20:21], -v[40:41]
	ds_read_b128 v[18:21], v212 offset:7888
	buffer_load_dword v47, off, s[60:63], 0 offset:764 ; 4-byte Folded Reload
	buffer_load_dword v48, off, s[60:63], 0 offset:768 ; 4-byte Folded Reload
	;; [unrolled: 1-line block ×4, first 2 shown]
	v_addc_co_u32_e32 v13, vcc, v13, v46, vcc
	global_store_dwordx4 v[12:13], v[0:3], off
	v_add_co_u32_e32 v12, vcc, s3, v12
	v_mul_f64 v[0:1], v[38:39], s[0:1]
	v_mul_f64 v[2:3], v[40:41], s[0:1]
	v_addc_co_u32_e32 v13, vcc, v13, v46, vcc
	s_waitcnt vmcnt(1) lgkmcnt(1)
	v_mul_f64 v[42:43], v[49:50], v[6:7]
	v_mul_f64 v[44:45], v[49:50], v[4:5]
	v_fma_f64 v[4:5], v[47:48], v[4:5], v[42:43]
	v_fma_f64 v[6:7], v[47:48], v[6:7], -v[44:45]
	buffer_load_dword v47, off, s[60:63], 0 offset:572 ; 4-byte Folded Reload
	buffer_load_dword v48, off, s[60:63], 0 offset:576 ; 4-byte Folded Reload
	;; [unrolled: 1-line block ×4, first 2 shown]
	v_mov_b32_e32 v42, s2
	global_store_dwordx4 v[12:13], v[0:3], off
	buffer_load_dword v43, off, s[60:63], 0 offset:356 ; 4-byte Folded Reload
	buffer_load_dword v44, off, s[60:63], 0 offset:360 ; 4-byte Folded Reload
	;; [unrolled: 1-line block ×4, first 2 shown]
	v_add_co_u32_e32 v12, vcc, s3, v12
	v_mul_f64 v[0:1], v[4:5], s[0:1]
	v_mul_f64 v[2:3], v[6:7], s[0:1]
	v_addc_co_u32_e32 v13, vcc, v13, v42, vcc
	global_store_dwordx4 v[12:13], v[0:3], off
	v_add_co_u32_e32 v12, vcc, s3, v12
	s_waitcnt vmcnt(6)
	v_mul_f64 v[38:39], v[49:50], v[24:25]
	v_mul_f64 v[40:41], v[49:50], v[22:23]
	v_fma_f64 v[4:5], v[47:48], v[22:23], v[38:39]
	v_fma_f64 v[6:7], v[47:48], v[24:25], -v[40:41]
	buffer_load_dword v39, off, s[60:63], 0 offset:716 ; 4-byte Folded Reload
	buffer_load_dword v40, off, s[60:63], 0 offset:720 ; 4-byte Folded Reload
	;; [unrolled: 1-line block ×4, first 2 shown]
	s_waitcnt vmcnt(5)
	v_mul_f64 v[22:23], v[45:46], v[16:17]
	v_mul_f64 v[24:25], v[45:46], v[14:15]
	v_mov_b32_e32 v38, s2
	v_addc_co_u32_e32 v13, vcc, v13, v38, vcc
	v_mul_f64 v[0:1], v[4:5], s[0:1]
	v_mul_f64 v[2:3], v[6:7], s[0:1]
	v_fma_f64 v[4:5], v[43:44], v[14:15], v[22:23]
	v_fma_f64 v[6:7], v[43:44], v[16:17], -v[24:25]
	v_mov_b32_e32 v22, s5
	global_store_dwordx4 v[12:13], v[0:3], off
	v_add_co_u32_e32 v12, vcc, s4, v12
	v_mul_f64 v[0:1], v[4:5], s[0:1]
	v_mul_f64 v[2:3], v[6:7], s[0:1]
	v_addc_co_u32_e32 v13, vcc, v13, v22, vcc
	v_mov_b32_e32 v22, s2
	s_waitcnt vmcnt(1)
	v_mul_f64 v[14:15], v[41:42], v[32:33]
	v_mul_f64 v[16:17], v[41:42], v[30:31]
	v_fma_f64 v[4:5], v[39:40], v[30:31], v[14:15]
	v_fma_f64 v[6:7], v[39:40], v[32:33], -v[16:17]
	buffer_load_dword v30, off, s[60:63], 0 offset:396 ; 4-byte Folded Reload
	buffer_load_dword v31, off, s[60:63], 0 offset:400 ; 4-byte Folded Reload
	;; [unrolled: 1-line block ×4, first 2 shown]
	s_waitcnt vmcnt(0)
	v_mul_f64 v[14:15], v[32:33], v[10:11]
	v_mul_f64 v[16:17], v[32:33], v[8:9]
	global_store_dwordx4 v[12:13], v[0:3], off
	v_add_co_u32_e32 v12, vcc, s3, v12
	v_mul_f64 v[0:1], v[4:5], s[0:1]
	v_mul_f64 v[2:3], v[6:7], s[0:1]
	v_addc_co_u32_e32 v13, vcc, v13, v22, vcc
	v_fma_f64 v[4:5], v[30:31], v[8:9], v[14:15]
	v_fma_f64 v[6:7], v[30:31], v[10:11], -v[16:17]
	buffer_load_dword v30, off, s[60:63], 0 offset:700 ; 4-byte Folded Reload
	buffer_load_dword v31, off, s[60:63], 0 offset:704 ; 4-byte Folded Reload
	;; [unrolled: 1-line block ×4, first 2 shown]
	v_mov_b32_e32 v14, s2
	global_store_dwordx4 v[12:13], v[0:3], off
	buffer_load_dword v22, off, s[60:63], 0 offset:412 ; 4-byte Folded Reload
	buffer_load_dword v23, off, s[60:63], 0 offset:416 ; 4-byte Folded Reload
	;; [unrolled: 1-line block ×4, first 2 shown]
	v_add_co_u32_e32 v12, vcc, s3, v12
	v_mul_f64 v[0:1], v[4:5], s[0:1]
	v_mul_f64 v[2:3], v[6:7], s[0:1]
	v_addc_co_u32_e32 v13, vcc, v13, v14, vcc
	global_store_dwordx4 v[12:13], v[0:3], off
	v_add_co_u32_e32 v12, vcc, s3, v12
	v_addc_co_u32_e32 v13, vcc, v13, v14, vcc
	s_waitcnt vmcnt(6)
	v_mul_f64 v[8:9], v[32:33], v[36:37]
	v_mul_f64 v[10:11], v[32:33], v[34:35]
	v_fma_f64 v[4:5], v[30:31], v[34:35], v[8:9]
	v_fma_f64 v[6:7], v[30:31], v[36:37], -v[10:11]
	s_waitcnt vmcnt(1)
	v_mul_f64 v[8:9], v[24:25], v[28:29]
	v_mul_f64 v[10:11], v[24:25], v[26:27]
	;; [unrolled: 1-line block ×4, first 2 shown]
	v_fma_f64 v[8:9], v[22:23], v[26:27], v[8:9]
	v_fma_f64 v[10:11], v[22:23], v[28:29], -v[10:11]
	ds_read_b128 v[4:7], v212 offset:9248
	buffer_load_dword v27, off, s[60:63], 0 offset:620 ; 4-byte Folded Reload
	buffer_load_dword v28, off, s[60:63], 0 offset:624 ; 4-byte Folded Reload
	;; [unrolled: 1-line block ×4, first 2 shown]
	v_mov_b32_e32 v26, s2
	s_waitcnt vmcnt(0) lgkmcnt(1)
	v_mul_f64 v[14:15], v[29:30], v[20:21]
	v_mul_f64 v[16:17], v[29:30], v[18:19]
	buffer_load_dword v29, off, s[60:63], 0 offset:652 ; 4-byte Folded Reload
	buffer_load_dword v30, off, s[60:63], 0 offset:656 ; 4-byte Folded Reload
	;; [unrolled: 1-line block ×4, first 2 shown]
	s_waitcnt vmcnt(0) lgkmcnt(0)
	v_mul_f64 v[22:23], v[31:32], v[6:7]
	v_mul_f64 v[24:25], v[31:32], v[4:5]
	global_store_dwordx4 v[12:13], v[0:3], off
	v_add_co_u32_e32 v12, vcc, s3, v12
	v_mul_f64 v[0:1], v[8:9], s[0:1]
	v_mul_f64 v[2:3], v[10:11], s[0:1]
	v_fma_f64 v[8:9], v[27:28], v[18:19], v[14:15]
	v_fma_f64 v[10:11], v[27:28], v[20:21], -v[16:17]
	v_fma_f64 v[4:5], v[29:30], v[4:5], v[22:23]
	v_fma_f64 v[6:7], v[29:30], v[6:7], -v[24:25]
	v_addc_co_u32_e32 v13, vcc, v13, v26, vcc
	global_store_dwordx4 v[12:13], v[0:3], off
	s_nop 0
	v_mul_f64 v[0:1], v[8:9], s[0:1]
	v_mul_f64 v[2:3], v[10:11], s[0:1]
	;; [unrolled: 1-line block ×4, first 2 shown]
	v_mov_b32_e32 v9, s2
	v_add_co_u32_e32 v8, vcc, s3, v12
	v_addc_co_u32_e32 v9, vcc, v13, v9, vcc
	global_store_dwordx4 v[8:9], v[0:3], off
	s_nop 0
	v_mov_b32_e32 v1, s2
	v_add_co_u32_e32 v0, vcc, s3, v8
	v_addc_co_u32_e32 v1, vcc, v9, v1, vcc
	global_store_dwordx4 v[0:1], v[4:7], off
.LBB0_10:
	s_endpgm
	.section	.rodata,"a",@progbits
	.p2align	6, 0x0
	.amdhsa_kernel bluestein_single_fwd_len595_dim1_dp_op_CI_CI
		.amdhsa_group_segment_fixed_size 28560
		.amdhsa_private_segment_fixed_size 2148
		.amdhsa_kernarg_size 104
		.amdhsa_user_sgpr_count 6
		.amdhsa_user_sgpr_private_segment_buffer 1
		.amdhsa_user_sgpr_dispatch_ptr 0
		.amdhsa_user_sgpr_queue_ptr 0
		.amdhsa_user_sgpr_kernarg_segment_ptr 1
		.amdhsa_user_sgpr_dispatch_id 0
		.amdhsa_user_sgpr_flat_scratch_init 0
		.amdhsa_user_sgpr_private_segment_size 0
		.amdhsa_uses_dynamic_stack 0
		.amdhsa_system_sgpr_private_segment_wavefront_offset 1
		.amdhsa_system_sgpr_workgroup_id_x 1
		.amdhsa_system_sgpr_workgroup_id_y 0
		.amdhsa_system_sgpr_workgroup_id_z 0
		.amdhsa_system_sgpr_workgroup_info 0
		.amdhsa_system_vgpr_workitem_id 0
		.amdhsa_next_free_vgpr 256
		.amdhsa_next_free_sgpr 64
		.amdhsa_reserve_vcc 1
		.amdhsa_reserve_flat_scratch 0
		.amdhsa_float_round_mode_32 0
		.amdhsa_float_round_mode_16_64 0
		.amdhsa_float_denorm_mode_32 3
		.amdhsa_float_denorm_mode_16_64 3
		.amdhsa_dx10_clamp 1
		.amdhsa_ieee_mode 1
		.amdhsa_fp16_overflow 0
		.amdhsa_exception_fp_ieee_invalid_op 0
		.amdhsa_exception_fp_denorm_src 0
		.amdhsa_exception_fp_ieee_div_zero 0
		.amdhsa_exception_fp_ieee_overflow 0
		.amdhsa_exception_fp_ieee_underflow 0
		.amdhsa_exception_fp_ieee_inexact 0
		.amdhsa_exception_int_div_zero 0
	.end_amdhsa_kernel
	.text
.Lfunc_end0:
	.size	bluestein_single_fwd_len595_dim1_dp_op_CI_CI, .Lfunc_end0-bluestein_single_fwd_len595_dim1_dp_op_CI_CI
                                        ; -- End function
	.section	.AMDGPU.csdata,"",@progbits
; Kernel info:
; codeLenInByte = 77776
; NumSgprs: 68
; NumVgprs: 256
; ScratchSize: 2148
; MemoryBound: 0
; FloatMode: 240
; IeeeMode: 1
; LDSByteSize: 28560 bytes/workgroup (compile time only)
; SGPRBlocks: 8
; VGPRBlocks: 63
; NumSGPRsForWavesPerEU: 68
; NumVGPRsForWavesPerEU: 256
; Occupancy: 1
; WaveLimiterHint : 1
; COMPUTE_PGM_RSRC2:SCRATCH_EN: 1
; COMPUTE_PGM_RSRC2:USER_SGPR: 6
; COMPUTE_PGM_RSRC2:TRAP_HANDLER: 0
; COMPUTE_PGM_RSRC2:TGID_X_EN: 1
; COMPUTE_PGM_RSRC2:TGID_Y_EN: 0
; COMPUTE_PGM_RSRC2:TGID_Z_EN: 0
; COMPUTE_PGM_RSRC2:TIDIG_COMP_CNT: 0
	.type	__hip_cuid_49cb560373b70ea9,@object ; @__hip_cuid_49cb560373b70ea9
	.section	.bss,"aw",@nobits
	.globl	__hip_cuid_49cb560373b70ea9
__hip_cuid_49cb560373b70ea9:
	.byte	0                               ; 0x0
	.size	__hip_cuid_49cb560373b70ea9, 1

	.ident	"AMD clang version 19.0.0git (https://github.com/RadeonOpenCompute/llvm-project roc-6.4.0 25133 c7fe45cf4b819c5991fe208aaa96edf142730f1d)"
	.section	".note.GNU-stack","",@progbits
	.addrsig
	.addrsig_sym __hip_cuid_49cb560373b70ea9
	.amdgpu_metadata
---
amdhsa.kernels:
  - .args:
      - .actual_access:  read_only
        .address_space:  global
        .offset:         0
        .size:           8
        .value_kind:     global_buffer
      - .actual_access:  read_only
        .address_space:  global
        .offset:         8
        .size:           8
        .value_kind:     global_buffer
      - .actual_access:  read_only
        .address_space:  global
        .offset:         16
        .size:           8
        .value_kind:     global_buffer
      - .actual_access:  read_only
        .address_space:  global
        .offset:         24
        .size:           8
        .value_kind:     global_buffer
      - .actual_access:  read_only
        .address_space:  global
        .offset:         32
        .size:           8
        .value_kind:     global_buffer
      - .offset:         40
        .size:           8
        .value_kind:     by_value
      - .address_space:  global
        .offset:         48
        .size:           8
        .value_kind:     global_buffer
      - .address_space:  global
        .offset:         56
        .size:           8
        .value_kind:     global_buffer
      - .address_space:  global
        .offset:         64
        .size:           8
        .value_kind:     global_buffer
      - .address_space:  global
        .offset:         72
        .size:           8
        .value_kind:     global_buffer
      - .offset:         80
        .size:           4
        .value_kind:     by_value
      - .address_space:  global
        .offset:         88
        .size:           8
        .value_kind:     global_buffer
      - .address_space:  global
        .offset:         96
        .size:           8
        .value_kind:     global_buffer
    .group_segment_fixed_size: 28560
    .kernarg_segment_align: 8
    .kernarg_segment_size: 104
    .language:       OpenCL C
    .language_version:
      - 2
      - 0
    .max_flat_workgroup_size: 51
    .name:           bluestein_single_fwd_len595_dim1_dp_op_CI_CI
    .private_segment_fixed_size: 2148
    .sgpr_count:     68
    .sgpr_spill_count: 0
    .symbol:         bluestein_single_fwd_len595_dim1_dp_op_CI_CI.kd
    .uniform_work_group_size: 1
    .uses_dynamic_stack: false
    .vgpr_count:     256
    .vgpr_spill_count: 645
    .wavefront_size: 64
amdhsa.target:   amdgcn-amd-amdhsa--gfx906
amdhsa.version:
  - 1
  - 2
...

	.end_amdgpu_metadata
